;; amdgpu-corpus repo=ROCm/aiter kind=harvested arch=n/a opt=n/a

/root/src/amdgpu-assembly/repos/ROCm__aiter/hsa/gfx950/fmha_v3_fwd/fwd_hd128_fp8.co:	file format elf64-amdgpu

Disassembly of section .text:

0000000000003b00 <_ZN5aiter24fmha_fwd_hd128_fp8_gfx950E>:
	s_and_b32 s1, s1, 0xffff                                   // 000000003B00: 8601FF01 0000FFFF
	s_mov_b32 s63, s2                                          // 000000003B08: BEBF0002
	s_mov_b32 s64, s3                                          // 000000003B0C: BEC00003
	s_mov_b32 s65, s4                                          // 000000003B10: BEC10004
	s_load_dwordx2 s[4:5], s[0:1], 0x0                         // 000000003B14: C0060100 00000000
	s_load_dwordx2 s[8:9], s[0:1], 0x10                        // 000000003B1C: C0060200 00000010
	s_load_dwordx2 s[12:13], s[0:1], 0x20                      // 000000003B24: C0060300 00000020
	s_load_dwordx2 s[16:17], s[0:1], 0x30                      // 000000003B2C: C0060400 00000030
	s_load_dword s28, s[0:1], 0x50                             // 000000003B34: C0020700 00000050
	s_load_dword s29, s[0:1], 0x60                             // 000000003B3C: C0020740 00000060
	s_load_dword s36, s[0:1], 0x70                             // 000000003B44: C0020900 00000070
	s_load_dword s30, s[0:1], 0x80                             // 000000003B4C: C0020780 00000080
	s_load_dword s31, s[0:1], 0x90                             // 000000003B54: C00207C0 00000090
	s_load_dword s32, s[0:1], 0xa0                             // 000000003B5C: C0020800 000000A0
	s_load_dword s58, s[0:1], 0xb0                             // 000000003B64: C0020E80 000000B0
	s_load_dword s59, s[0:1], 0x110                            // 000000003B6C: C0020EC0 00000110
	s_load_dword s38, s[0:1], 0xc0                             // 000000003B74: C0020980 000000C0
	s_load_dword s52, s[0:1], 0xd0                             // 000000003B7C: C0020D00 000000D0
	s_load_dword s53, s[0:1], 0xe0                             // 000000003B84: C0020D40 000000E0
	s_load_dword s39, s[0:1], 0x150                            // 000000003B8C: C00209C0 00000150
	s_load_dword s54, s[0:1], 0x160                            // 000000003B94: C0020D80 00000160
	s_load_dword s55, s[0:1], 0x170                            // 000000003B9C: C0020DC0 00000170
	s_load_dword s37, s[0:1], 0x180                            // 000000003BA4: C0020940 00000180
	s_load_dword s56, s[0:1], 0x190                            // 000000003BAC: C0020E00 00000190
	s_load_dword s57, s[0:1], 0x1a0                            // 000000003BB4: C0020E40 000001A0
	s_load_dwordx2 s[20:21], s[0:1], 0x200                     // 000000003BBC: C0060500 00000200
	s_load_dwordx2 s[22:23], s[0:1], 0x210                     // 000000003BC4: C0060580 00000210
	s_load_dwordx2 s[24:25], s[0:1], 0x220                     // 000000003BCC: C0060600 00000220
	v_lshrrev_b32_e32 v1, 10, v0                               // 000000003BD4: 2002008A
	v_lshrrev_b32_e32 v2, 10, v1                               // 000000003BD8: 2004028A
	v_and_b32_e32 v2, 0x3ff, v2                                // 000000003BDC: 260404FF 000003FF
	v_and_b32_e32 v1, 0x3ff, v1                                // 000000003BE4: 260202FF 000003FF
	v_and_b32_e32 v0, 0x3ff, v0                                // 000000003BEC: 260000FF 000003FF
	v_lshrrev_b32_e32 v3, 6, v0                                // 000000003BF4: 20060086
	v_and_b32_e32 v0, 63, v0                                   // 000000003BF8: 260000BF
	v_readfirstlane_b32 s62, v3                                // 000000003BFC: 7E7C0503
	v_and_b32_e32 v184, 31, v0                                 // 000000003C00: 2770009F
	v_lshrrev_b32_e32 v184, 2, v184                            // 000000003C04: 21717082
	v_lshrrev_b32_e32 v185, 5, v0                              // 000000003C08: 21720085
	v_lshlrev_b32_e32 v185, 5, v185                            // 000000003C0C: 25737285
	v_add_u32_e32 v198, v184, v185                             // 000000003C10: 698D73B8
	v_lshrrev_b32_e32 v184, 4, v0                              // 000000003C14: 21700084
	v_lshlrev_b32_e32 v184, 4, v184                            // 000000003C18: 25717084
	v_lshrrev_b32_e32 v185, 3, v0                              // 000000003C1C: 21720083
	v_and_b32_e32 v185, 1, v185                                // 000000003C20: 27737281
	v_add_u32_e32 v199, v184, v185                             // 000000003C24: 698F73B8
	v_lshrrev_b32_e32 v184, 5, v0                              // 000000003C28: 21700085
	v_lshlrev_b32_e32 v184, 4, v184                            // 000000003C2C: 25717084
	v_and_b32_e32 v185, 31, v0                                 // 000000003C30: 2772009F
	v_lshrrev_b32_e32 v185, 3, v185                            // 000000003C34: 21737283
	v_mul_i32_i24_e32 v185, 0x410, v185                        // 000000003C38: 0D7372FF 00000410
	v_and_b32_e32 v186, 7, v0                                  // 000000003C40: 27740087
	v_lshlrev_b32_e32 v186, 6, v186                            // 000000003C44: 25757486
	v_add3_u32 v200, v184, v185, v186                          // 000000003C48: D1FF00C8 06EB73B8
	v_lshrrev_b32_e32 v184, 5, v0                              // 000000003C50: 21700085
	v_lshlrev_b32_e32 v195, 2, v184                            // 000000003C54: 25877082
	s_mul_i32 s66, s62, 32                                     // 000000003C58: 9242A03E
	v_and_b32_e32 v196, 31, v0                                 // 000000003C5C: 2788009F
	v_add_u32_e32 v196, s66, v196                              // 000000003C60: 69898842
	s_lshr_b32 s66, s62, 1                                     // 000000003C64: 8F42813E
	s_mul_i32 s66, s66, 0x2080                                 // 000000003C68: 9242FF42 00002080
	s_add_u32 s66, s66, 0                                      // 000000003C70: 80428042
	s_and_b32 s67, s62, 1                                      // 000000003C74: 8643813E
	s_lshl_b32 s67, s67, 9                                     // 000000003C78: 8E438943
	s_add_u32 s66, s67, s66                                    // 000000003C7C: 80424243
	v_add_u32_e32 v205, s66, v200                              // 000000003C80: 699B9042
	v_add_u32_e32 v218, 0x8200, v200                           // 000000003C84: 69B590FF 00008200
	v_lshrrev_b32_e32 v184, 1, v0                              // 000000003C8C: 21700081
	v_and_b32_e32 v184, 7, v184                                // 000000003C90: 27717087
	v_and_b32_e32 v185, 1, v184                                // 000000003C94: 27737081
	v_mul_i32_i24_e32 v185, 0x80, v185                         // 000000003C98: 0D7372FF 00000080
	v_lshrrev_b32_e32 v184, 1, v184                            // 000000003CA0: 21717081
	v_mul_i32_i24_e32 v184, 0x820, v184                        // 000000003CA4: 0D7170FF 00000820
	v_add_u32_e32 v219, v185, v184                             // 000000003CAC: 69B771B9
	v_and_b32_e32 v184, 1, v0                                  // 000000003CB0: 27700081
	v_mul_i32_i24_e32 v184, 8, v184                            // 000000003CB4: 0D717088
	v_add_u32_e32 v219, v184, v219                             // 000000003CB8: 69B7B7B8
	v_lshrrev_b32_e32 v184, 4, v0                              // 000000003CBC: 21700084
	v_and_b32_e32 v185, 1, v184                                // 000000003CC0: 27737081
	v_mul_i32_i24_e32 v185, 16, v185                           // 000000003CC4: 0D737290
	v_add_u32_e32 v219, v185, v219                             // 000000003CC8: 69B7B7B9
	v_lshrrev_b32_e32 v185, 1, v184                            // 000000003CCC: 21737081
	v_mul_i32_i24_e32 v185, 0x410, v185                        // 000000003CD0: 0D7372FF 00000410
	v_add_u32_e32 v219, v185, v219                             // 000000003CD8: 69B7B7B9
	v_add_u32_e32 v219, 0x10400, v219                          // 000000003CDC: 69B7B6FF 00010400
	s_lshr_b32 s66, s62, 1                                     // 000000003CE4: 8F42813E
	s_mul_i32 s66, s66, 4                                      // 000000003CE8: 92428442
	s_and_b32 s67, s62, 1                                      // 000000003CEC: 8643813E
	s_add_u32 s66, s66, s67                                    // 000000003CF0: 80424342
	s_mul_i32 s71, s66, 0x820                                  // 000000003CF4: 9247FF42 00000820
	s_add_u32 s71, 0x8200, s71                                 // 000000003CFC: 804747FF 00008200
	s_and_b32 s67, s62, 3                                      // 000000003D04: 8643833E
	s_mul_i32 s67, s67, 0x1040                                 // 000000003D08: 9243FF43 00001040
	s_add_u32 s72, 0x10400, s67                                // 000000003D10: 804843FF 00010400
	v_mov_b32_e32 v197, 0xff800000                             // 000000003D18: 7F8A02FF FF800000
	s_waitcnt lgkmcnt(0)                                       // 000000003D20: BF8CC07F
	s_and_b32 s21, s21, 0xffff                                 // 000000003D24: 8615FF15 0000FFFF
	s_load_dword s33, s[20:21], 0x0                            // 000000003D2C: C002084A 00000000
	s_and_b32 s23, s23, 0xffff                                 // 000000003D34: 8617FF17 0000FFFF
	s_load_dword s34, s[22:23], 0x0                            // 000000003D3C: C002088B 00000000
	s_and_b32 s25, s25, 0xffff                                 // 000000003D44: 8619FF19 0000FFFF
	s_load_dword s35, s[24:25], 0x0                            // 000000003D4C: C00208CC 00000000
	v_mov_b32_e32 v222, s38                                    // 000000003D54: 7FBC0226
	v_mov_b32_e32 v223, s39                                    // 000000003D58: 7FBE0227
	s_mov_b32 s40, 0                                           // 000000003D5C: BEA80080
	s_mov_b32 s41, 0x100                                       // 000000003D60: BEA900FF 00000100
	s_mov_b32 s42, 0                                           // 000000003D68: BEAA0080
	s_mov_b32 s44, 0                                           // 000000003D6C: BEAC0080
	s_mov_b32 s45, 0x100                                       // 000000003D70: BEAD00FF 00000100
	s_mov_b32 s46, 0                                           // 000000003D78: BEAE0080
	s_mov_b32 s48, -1                                          // 000000003D7C: BEB000C1
	s_mov_b32 s49, 0                                           // 000000003D80: BEB10080
	s_mov_b32 s51, 1                                           // 000000003D84: BEB30081
	s_mul_i32 s50, s63, 0x100                                  // 000000003D88: 9232FF3F 00000100
	s_mov_b32 s43, s59                                         // 000000003D90: BEAB003B
	s_mov_b32 s47, s59                                         // 000000003D94: BEAF003B
	s_waitcnt lgkmcnt(0)                                       // 000000003D98: BF8CC07F
	v_mov_b32_e32 v184, s28                                    // 000000003D9C: 7F70021C
	v_mul_f32_e32 v184, s33, v184                              // 000000003DA0: 0B717021
	v_mul_f32_e64 v184, v184, s34                              // 000000003DA4: D10500B8 000045B8
	v_mul_f32_e32 v185, 0x3fb8aa3b, v184                       // 000000003DAC: 0B7370FF 3FB8AA3B
	v_readfirstlane_b32 s28, v184                              // 000000003DB4: 7E3805B8
	v_readfirstlane_b32 s26, v185                              // 000000003DB8: 7E3405B9
	s_mov_b32 s27, s26                                         // 000000003DBC: BE9B001A
	s_mov_b32 s66, 0                                           // 000000003DC0: BEC20080
	s_cmp_ge_u32 s58, 2                                        // 000000003DC4: BF09823A
	s_cselect_b32 s67, 1, 0                                    // 000000003DC8: 85438081
	s_add_u32 s66, s66, s67                                    // 000000003DCC: 80424342
	s_cmp_ge_u32 s58, 4                                        // 000000003DD0: BF09843A
	s_cselect_b32 s67, 1, 0                                    // 000000003DD4: 85438081
	s_add_u32 s66, s66, s67                                    // 000000003DD8: 80424342
	s_cmp_ge_u32 s58, 8                                        // 000000003DDC: BF09883A
	s_cselect_b32 s67, 1, 0                                    // 000000003DE0: 85438081
	s_add_u32 s66, s66, s67                                    // 000000003DE4: 80424342
	s_cmp_ge_u32 s58, 16                                       // 000000003DE8: BF09903A
	s_cselect_b32 s67, 1, 0                                    // 000000003DEC: 85438081
	s_add_u32 s58, s66, s67                                    // 000000003DF0: 803A4342
	s_mul_i32 s66, s65, s53                                    // 000000003DF4: 92423541
	s_lshr_b32 s67, s64, s58                                   // 000000003DF8: 8F433A40
	s_mul_i32 s67, s67, s52                                    // 000000003DFC: 92433443
	s_add_u32 s12, s12, s66                                    // 000000003E00: 800C420C
	s_addc_u32 s13, s13, 0                                     // 000000003E04: 820D800D
	s_add_u32 s12, s12, s67                                    // 000000003E08: 800C430C
	s_addc_u32 s13, s13, 0                                     // 000000003E0C: 820D800D
	s_mul_i32 s66, s65, s55                                    // 000000003E10: 92423741
	s_lshr_b32 s67, s64, s58                                   // 000000003E14: 8F433A40
	s_mul_i32 s67, s67, s54                                    // 000000003E18: 92433643
	s_add_u32 s16, s16, s66                                    // 000000003E1C: 80104210
	s_addc_u32 s17, s17, 0                                     // 000000003E20: 82118011
	s_add_u32 s16, s16, s67                                    // 000000003E24: 80104310
	s_addc_u32 s17, s17, 0                                     // 000000003E28: 82118011
	s_mul_i32 s66, s65, s32                                    // 000000003E2C: 92422041
	s_mul_i32 s67, s63, s30                                    // 000000003E30: 92431E3F
	s_add_u32 s67, s67, s66                                    // 000000003E34: 80434243
	s_mul_i32 s66, s64, s31                                    // 000000003E38: 92421F40
	s_add_u32 s67, s67, s66                                    // 000000003E3C: 80434243
	s_add_u32 s8, s8, s67                                      // 000000003E40: 80084308
	s_addc_u32 s9, s9, 0                                       // 000000003E44: 82098009
	s_mul_i32 s66, s65, s57                                    // 000000003E48: 92423941
	s_mul_i32 s67, s64, s56                                    // 000000003E4C: 92433840
	s_add_u32 s66, s66, s67                                    // 000000003E50: 80424342
	s_mul_i32 s67, s63, 0x100                                  // 000000003E54: 9243FF3F 00000100
	s_mul_i32 s67, s67, s37                                    // 000000003E5C: 92432543
	s_add_u32 s66, s66, s67                                    // 000000003E60: 80424342
	s_add_u32 s4, s4, s66                                      // 000000003E64: 80044204
	s_addc_u32 s5, s5, 0                                       // 000000003E68: 82058005
	s_mov_b32 s10, 0x80000000                                  // 000000003E6C: BE8A00FF 80000000
	s_mov_b32 s11, 0x20000                                     // 000000003E74: BE8B00FF 00020000
	s_and_b32 s9, s9, 0xffff                                   // 000000003E7C: 8609FF09 0000FFFF
	s_or_b32 s9, s9, 0                                         // 000000003E84: 87098009
	s_mov_b32 s10, s30                                         // 000000003E88: BE8A001E
	s_mov_b32 s14, 0x80000000                                  // 000000003E8C: BE8E00FF 80000000
	s_mov_b32 s15, 0x20000                                     // 000000003E94: BE8F00FF 00020000
	s_and_b32 s13, s13, 0xffff                                 // 000000003E9C: 860DFF0D 0000FFFF
	s_or_b32 s13, s13, 0                                       // 000000003EA4: 870D800D
	s_mul_i32 s66, s59, s38                                    // 000000003EA8: 9242263B
	s_mov_b32 s14, s66                                         // 000000003EAC: BE8E0042
	s_mov_b32 s18, 0x80000000                                  // 000000003EB0: BE9200FF 80000000
	s_mov_b32 s19, 0x20000                                     // 000000003EB8: BE9300FF 00020000
	s_and_b32 s17, s17, 0xffff                                 // 000000003EC0: 8611FF11 0000FFFF
	s_or_b32 s17, s17, 0                                       // 000000003EC8: 87118011
	s_mul_i32 s66, s59, s39                                    // 000000003ECC: 9242273B
	s_mov_b32 s18, s66                                         // 000000003ED0: BE920042
	s_mov_b32 s6, 0x80000000                                   // 000000003ED4: BE8600FF 80000000
	s_mov_b32 s7, 0x20000                                      // 000000003EDC: BE8700FF 00020000
	s_and_b32 s5, s5, 0xffff                                   // 000000003EE4: 8605FF05 0000FFFF
	s_or_b32 s5, s5, 0                                         // 000000003EEC: 87058005
	s_mul_i32 s66, 0x100, s37                                  // 000000003EF0: 924225FF 00000100
	s_mov_b32 s6, s66                                          // 000000003EF8: BE860042
	s_mul_i32 s66, s63, 0x100                                  // 000000003EFC: 9242FF3F 00000100
	s_sub_u32 s66, s29, s66                                    // 000000003F04: 80C2421D
	s_cmp_le_u32 s66, 0x100                                    // 000000003F08: BF0BFF42 00000100
	s_cselect_b32 s66, s66, 0x100                              // 000000003F10: 8542FF42 00000100
	s_mul_i32 s67, s66, s36                                    // 000000003F18: 92432442
	s_mov_b32 s10, s67                                         // 000000003F1C: BE8A0043
	s_mul_i32 s67, s66, s37                                    // 000000003F20: 92432542
	s_mov_b32 s6, s67                                          // 000000003F24: BE860043
	s_lshr_b32 s66, s62, 1                                     // 000000003F28: 8F42813E
	s_lshl_b32 s66, s66, 6                                     // 000000003F2C: 8E428642
	s_and_b32 s67, s62, 1                                      // 000000003F30: 8643813E
	s_lshl_b32 s67, s67, 4                                     // 000000003F34: 8E438443
	s_add_u32 s66, s66, s67                                    // 000000003F38: 80424342
	v_add_u32_e32 v184, s66, v198                              // 000000003F3C: 69718C42
	v_and_b32_e32 v185, 3, v0                                  // 000000003F40: 27720083
	v_lshlrev_b32_e32 v185, 4, v185                            // 000000003F44: 25737284
	v_mul_i32_i24_e32 v201, s36, v184                          // 000000003F48: 0D937024
	v_add_u32_e32 v201, v201, v185                             // 000000003F4C: 699373C9
	s_lshl_b32 s67, s36, 3                                     // 000000003F50: 8E438324
	v_add_u32_e32 v202, s67, v201                              // 000000003F54: 69959243
	s_lshr_b32 s66, s62, 1                                     // 000000003F58: 8F42813E
	s_mul_i32 s66, s66, 4                                      // 000000003F5C: 92428442
	s_and_b32 s67, s62, 1                                      // 000000003F60: 8643813E
	s_add_u32 s66, s66, s67                                    // 000000003F64: 80424342
	s_mul_i32 s70, s66, 0x820                                  // 000000003F68: 9246FF42 00000820
	s_lshr_b32 s66, s62, 1                                     // 000000003F70: 8F42813E
	s_lshl_b32 s66, s66, 6                                     // 000000003F74: 8E428642
	s_and_b32 s67, s62, 1                                      // 000000003F78: 8643813E
	s_lshl_b32 s67, s67, 4                                     // 000000003F7C: 8E438443
	s_add_u32 s66, s66, s67                                    // 000000003F80: 80424342
	v_add_u32_e32 v184, s66, v198                              // 000000003F84: 69718C42
	v_and_b32_e32 v185, 1, v0                                  // 000000003F88: 27720081
	v_lshlrev_b32_e32 v185, 3, v185                            // 000000003F8C: 25737283
	v_and_b32_e32 v186, 3, v0                                  // 000000003F90: 27740083
	v_lshrrev_b32_e32 v186, 1, v186                            // 000000003F94: 21757481
	v_lshlrev_b32_e32 v186, 7, v186                            // 000000003F98: 25757487
	v_add3_u32 v206, v184, v185, v186                          // 000000003F9C: D1FF00CE 06EB73B8
	v_lshlrev_b32_e32 v206, 2, v206                            // 000000003FA4: 259D9C82
	s_lshr_b32 s66, s62, 1                                     // 000000003FA8: 8F42813E
	s_and_b32 s66, s66, 1                                      // 000000003FAC: 86428142
	s_lshl_b32 s66, s66, 6                                     // 000000003FB0: 8E428642
	s_and_b32 s67, s62, 1                                      // 000000003FB4: 8643813E
	s_lshl_b32 s67, s67, 3                                     // 000000003FB8: 8E438343
	s_add_u32 s66, s66, s67                                    // 000000003FBC: 80424342
	v_add_u32_e32 v184, s66, v199                              // 000000003FC0: 69718E42
	v_and_b32_e32 v185, 1, v0                                  // 000000003FC4: 27720081
	v_lshlrev_b32_e32 v185, 2, v185                            // 000000003FC8: 25737282
	v_and_b32_e32 v186, 3, v0                                  // 000000003FCC: 27740083
	v_lshrrev_b32_e32 v186, 1, v186                            // 000000003FD0: 21757481
	v_lshlrev_b32_e32 v186, 1, v186                            // 000000003FD4: 25757481
	v_add3_u32 v208, v184, v185, v186                          // 000000003FD8: D1FF00D0 06EB73B8
	v_lshlrev_b32_e32 v208, 2, v208                            // 000000003FE0: 25A1A082
	s_lshl_b32 s66, s62, 5                                     // 000000003FE4: 8E42853E
	v_and_b32_e32 v184, 31, v0                                 // 000000003FE8: 2770009F
	v_add_u32_e64 v184, v184, s66                              // 000000003FEC: D13400B8 000085B8
	v_lshrrev_b32_e32 v185, 5, v0                              // 000000003FF4: 21720085
	v_mul_i32_i24_e32 v185, 16, v185                           // 000000003FF8: 0D737290
	v_mul_i32_i24_e32 v186, s37, v184                          // 000000003FFC: 0D757025
	v_add_u32_e32 v220, v185, v186                             // 000000004000: 69B975B9
	v_mov_b64_e32 v[116:117], 0                                // 000000004004: 7EE87080
	v_mov_b64_e32 v[118:119], 0                                // 000000004008: 7EEC7080
	v_mov_b64_e32 v[120:121], 0                                // 00000000400C: 7EF07080
	v_mov_b64_e32 v[122:123], 0                                // 000000004010: 7EF47080
	v_mov_b64_e32 v[124:125], 0                                // 000000004014: 7EF87080
	v_mov_b64_e32 v[126:127], 0                                // 000000004018: 7EFC7080
	v_mov_b64_e32 v[128:129], 0                                // 00000000401C: 7F007080
	v_mov_b64_e32 v[130:131], 0                                // 000000004020: 7F047080
	v_mov_b64_e32 v[132:133], 0                                // 000000004024: 7F087080
	v_mov_b64_e32 v[134:135], 0                                // 000000004028: 7F0C7080
	v_mov_b64_e32 v[136:137], 0                                // 00000000402C: 7F107080
	v_mov_b64_e32 v[138:139], 0                                // 000000004030: 7F147080
	v_mov_b64_e32 v[140:141], 0                                // 000000004034: 7F187080
	v_mov_b64_e32 v[142:143], 0                                // 000000004038: 7F1C7080
	v_mov_b64_e32 v[144:145], 0                                // 00000000403C: 7F207080
	v_mov_b64_e32 v[146:147], 0                                // 000000004040: 7F247080
	v_mov_b64_e32 v[148:149], 0                                // 000000004044: 7F287080
	v_mov_b64_e32 v[150:151], 0                                // 000000004048: 7F2C7080
	v_mov_b64_e32 v[152:153], 0                                // 00000000404C: 7F307080
	v_mov_b64_e32 v[154:155], 0                                // 000000004050: 7F347080
	v_mov_b64_e32 v[156:157], 0                                // 000000004054: 7F387080
	v_mov_b64_e32 v[158:159], 0                                // 000000004058: 7F3C7080
	v_mov_b64_e32 v[160:161], 0                                // 00000000405C: 7F407080
	v_mov_b64_e32 v[162:163], 0                                // 000000004060: 7F447080
	v_mov_b64_e32 v[164:165], 0                                // 000000004064: 7F487080
	v_mov_b64_e32 v[166:167], 0                                // 000000004068: 7F4C7080
	v_mov_b64_e32 v[168:169], 0                                // 00000000406C: 7F507080
	v_mov_b64_e32 v[170:171], 0                                // 000000004070: 7F547080
	v_mov_b64_e32 v[172:173], 0                                // 000000004074: 7F587080
	v_mov_b64_e32 v[174:175], 0                                // 000000004078: 7F5C7080
	v_mov_b64_e32 v[176:177], 0                                // 00000000407C: 7F607080
	v_mov_b64_e32 v[178:179], 0                                // 000000004080: 7F647080
	v_mov_b32_e32 v192, 0xff800000                             // 000000004084: 7F8002FF FF800000
	v_mov_b64_e32 v[188:189], 0                                // 00000000408C: 7F787080
	v_mov_b64_e32 v[190:191], 0                                // 000000004090: 7F7C7080
	s_mov_b32 s68, 0                                           // 000000004094: BEC40080
	s_cmp_lt_i32 s62, 4                                        // 000000004098: BF04843E
	s_cbranch_scc0 label_1938                                  // 00000000409C: BF8404E6
	s_setprio 1                                                // 0000000040A0: BF8F0001
	s_lshl_b32 s66, s42, 2                                     // 0000000040A4: 8E42822A
	v_add_u32_e32 v207, s66, v206                              // 0000000040A8: 699F9C42
	v_lshrrev_b32_e32 v180, 2, v207                            // 0000000040AC: 21699E82
	v_add_u32_e32 v207, 0x400, v207                            // 0000000040B0: 699F9EFF 00000400
	v_mov_b32_e32 v203, v201                                   // 0000000040B8: 7F9603C9
	v_mov_b32_e32 v204, v202                                   // 0000000040BC: 7F9803CA
	s_add_u32 m0, s70, 0                                       // 0000000040C0: 807C8046
	buffer_load_dwordx4 v203, s[8:11], 0 offen lds             // 0000000040C4: E05D1000 800200CB
	s_add_u32 m0, s70, 0x410                                   // 0000000040CC: 807CFF46 00000410
	buffer_load_dwordx4 v204, s[8:11], 0 offen lds             // 0000000040D4: E05D1000 800200CC
	s_add_u32 m0, s70, 0x1000                                  // 0000000040DC: 807CFF46 00001000
	buffer_load_dwordx4 v203, s[8:11], 0 offen offset:64 lds   // 0000000040E4: E05D1040 800200CB
	s_add_u32 m0, s70, 0x1410                                  // 0000000040EC: 807CFF46 00001410
	buffer_load_dwordx4 v204, s[8:11], 0 offen offset:64 lds   // 0000000040F4: E05D1040 800200CC
	v_mov_b32_e32 v194, s43                                    // 0000000040FC: 7F84022B
	s_and_b32 s69, s43, 0xffffff80                             // 000000004100: 8645FF2B FFFFFF80
	v_mov_b32_e32 v221, v220                                   // 000000004108: 7FBA03DC
	v_and_b32_e32 v184, 3, v0                                  // 00000000410C: 27700083
	v_lshlrev_b32_e32 v210, 4, v184                            // 000000004110: 25A57084
	s_waitcnt vmcnt(0)                                         // 000000004114: BF8C0F70
	v_mul_i32_i24_dpp v184, v180, v222 quad_perm:[0,0,0,0] row_mask:0xf bank_mask:0xf// 000000004118: 0D71BCFA FF0000B4
	v_mul_i32_i24_dpp v185, v180, v222 quad_perm:[1,1,1,1] row_mask:0xf bank_mask:0xf// 000000004120: 0D73BCFA FF0055B4
	v_add_u32_e32 v211, v210, v184                             // 000000004128: 69A771D2
	v_add_u32_e32 v212, v210, v185                             // 00000000412C: 69A973D2
	s_add_u32 m0, s71, 0                                       // 000000004130: 807C8047
	buffer_load_dwordx4 v211, s[12:15], 0 offen lds            // 000000004134: E05D1000 800300D3
	s_add_u32 m0, s71, 0x410                                   // 00000000413C: 807CFF47 00000410
	buffer_load_dwordx4 v212, s[12:15], 0 offen lds            // 000000004144: E05D1000 800300D4
	s_add_u32 m0, s71, 0x1000                                  // 00000000414C: 807CFF47 00001000
	buffer_load_dwordx4 v211, s[12:15], 0 offen offset:64 lds  // 000000004154: E05D1040 800300D3
	s_add_u32 m0, s71, 0x1410                                  // 00000000415C: 807CFF47 00001410
	buffer_load_dwordx4 v212, s[12:15], 0 offen offset:64 lds  // 000000004164: E05D1040 800300D4
	s_waitcnt vmcnt(0)                                         // 00000000416C: BF8C0F70
	s_barrier                                                  // 000000004170: BF8A0000
	ds_read_b128 v[4:7], v205                                  // 000000004174: D9FE0000 040000CD
	ds_read_b128 v[8:11], v205 offset:32                       // 00000000417C: D9FE0020 080000CD
	ds_read_b128 v[12:15], v205 offset:4160                    // 000000004184: D9FE1040 0C0000CD
	ds_read_b128 v[16:19], v205 offset:4192                    // 00000000418C: D9FE1060 100000CD
	s_waitcnt vmcnt(0)                                         // 000000004194: BF8C0F70
	s_barrier                                                  // 000000004198: BF8A0000
	ds_read_b128 v[20:23], v218                                // 00000000419C: D9FE0000 140000DA
	ds_read_b128 v[24:27], v218 offset:32                      // 0000000041A4: D9FE0020 180000DA
	ds_read_b128 v[28:31], v218 offset:4160                    // 0000000041AC: D9FE1040 1C0000DA
	ds_read_b128 v[32:35], v218 offset:4192                    // 0000000041B4: D9FE1060 200000DA

00000000000041bc <label_06BC>:
	s_cmp_lt_i32 s68, s69                                      // 0000000041BC: BF044544
	s_cbranch_scc0 label_2D40                                  // 0000000041C0: BF84099F
	s_waitcnt lgkmcnt(2)                                       // 0000000041C4: BF8CC27F
	v_mfma_f32_32x32x64_f8f6f4 v[52:67], v[20:27], v[4:11], 0  // 0000000041C8: D3AE0034 02020914
	v_mul_i32_i24_dpp v184, v180, v222 quad_perm:[2,2,2,2] row_mask:0xf bank_mask:0xf// 0000000041D0: 0D71BCFA FF00AAB4
	v_mul_i32_i24_dpp v185, v180, v222 quad_perm:[3,3,3,3] row_mask:0xf bank_mask:0xf// 0000000041D8: 0D73BCFA FF00FFB4
	v_add_u32_e32 v211, v210, v184                             // 0000000041E0: 69A771D2
	v_add_u32_e32 v212, v210, v185                             // 0000000041E4: 69A973D2
	ds_read_b128 v[36:39], v218 offset:512                     // 0000000041E8: D9FE0200 240000DA
	ds_read_b128 v[40:43], v218 offset:544                     // 0000000041F0: D9FE0220 280000DA
	s_waitcnt lgkmcnt(2)                                       // 0000000041F8: BF8CC27F
	v_mfma_f32_32x32x64_f8f6f4 v[52:67], v[28:35], v[12:19], v[52:67]// 0000000041FC: D3AE0034 04D2191C
	s_add_u32 m0, s71, 0x4100                                  // 000000004204: 807CFF47 00004100
	buffer_load_dwordx4 v211, s[12:15], 0 offen lds            // 00000000420C: E05D1000 800300D3
	ds_read_b128 v[44:47], v218 offset:4672                    // 000000004214: D9FE1240 2C0000DA
	ds_read_b128 v[48:51], v218 offset:4704                    // 00000000421C: D9FE1260 300000DA
	s_waitcnt lgkmcnt(2)                                       // 000000004224: BF8CC27F
	v_mfma_f32_32x32x64_f8f6f4 v[68:83], v[36:43], v[4:11], 0  // 000000004228: D3AE0044 02020924
	s_add_u32 m0, s71, 0x4510                                  // 000000004230: 807CFF47 00004510
	buffer_load_dwordx4 v212, s[12:15], 0 offen lds            // 000000004238: E05D1000 800300D4
	ds_read_b128 v[20:23], v218 offset:8320                    // 000000004240: D9FE2080 140000DA
	ds_read_b128 v[24:27], v218 offset:8352                    // 000000004248: D9FE20A0 180000DA
	s_waitcnt lgkmcnt(2)                                       // 000000004250: BF8CC27F
	v_mfma_f32_32x32x64_f8f6f4 v[68:83], v[44:51], v[12:19], v[68:83]// 000000004254: D3AE0044 0512192C
	s_add_u32 m0, s71, 0x5100                                  // 00000000425C: 807CFF47 00005100
	buffer_load_dwordx4 v211, s[12:15], 0 offen offset:64 lds  // 000000004264: E05D1040 800300D3
	ds_read_b128 v[28:31], v218 offset:12480                   // 00000000426C: D9FE30C0 1C0000DA
	ds_read_b128 v[32:35], v218 offset:12512                   // 000000004274: D9FE30E0 200000DA
	s_waitcnt lgkmcnt(2)                                       // 00000000427C: BF8CC27F
	v_mfma_f32_32x32x64_f8f6f4 v[84:99], v[20:27], v[4:11], 0  // 000000004280: D3AE0054 02020914
	s_add_u32 m0, s71, 0x5510                                  // 000000004288: 807CFF47 00005510
	buffer_load_dwordx4 v212, s[12:15], 0 offen offset:64 lds  // 000000004290: E05D1040 800300D4
	ds_read_b128 v[36:39], v218 offset:8832                    // 000000004298: D9FE2280 240000DA
	ds_read_b128 v[40:43], v218 offset:8864                    // 0000000042A0: D9FE22A0 280000DA
	s_waitcnt lgkmcnt(2)                                       // 0000000042A8: BF8CC27F
	v_mfma_f32_32x32x64_f8f6f4 v[84:99], v[28:35], v[12:19], v[84:99]// 0000000042AC: D3AE0054 0552191C
	v_lshrrev_b32_e32 v180, 2, v207                            // 0000000042B4: 21699E82
	v_add_u32_e32 v207, 0x400, v207                            // 0000000042B8: 699F9EFF 00000400
	ds_read_b128 v[44:47], v218 offset:12992                   // 0000000042C0: D9FE32C0 2C0000DA
	ds_read_b128 v[48:51], v218 offset:13024                   // 0000000042C8: D9FE32E0 300000DA
	s_waitcnt lgkmcnt(2)                                       // 0000000042D0: BF8CC27F
	v_mfma_f32_32x32x64_f8f6f4 v[100:115], v[36:43], v[4:11], 0// 0000000042D4: D3AE0064 02020924
	s_barrier                                                  // 0000000042DC: BF8A0000
	ds_read_b64_tr_b8 v[20:21], v219                           // 0000000042E0: D9C40000 140000DB
	ds_read_b64_tr_b8 v[22:23], v219 offset:256                // 0000000042E8: D9C40100 160000DB
	ds_read_b64_tr_b8 v[24:25], v219 offset:512                // 0000000042F0: D9C40200 180000DB
	ds_read_b64_tr_b8 v[26:27], v219 offset:768                // 0000000042F8: D9C40300 1A0000DB
	s_waitcnt lgkmcnt(4)                                       // 000000004300: BF8CC47F
	v_mfma_f32_32x32x64_f8f6f4 v[100:115], v[44:51], v[12:19], v[100:115]// 000000004304: D3AE0064 0592192C
	ds_read_b64_tr_b8 v[28:29], v219 offset:8320               // 00000000430C: D9C42080 1C0000DB
	ds_read_b64_tr_b8 v[30:31], v219 offset:8576               // 000000004314: D9C42180 1E0000DB
	ds_read_b64_tr_b8 v[32:33], v219 offset:8832               // 00000000431C: D9C42280 200000DB
	ds_read_b64_tr_b8 v[34:35], v219 offset:9088               // 000000004324: D9C42380 220000DB
	s_nop 5                                                    // 00000000432C: BF800005
	s_barrier                                                  // 000000004330: BF8A0000
	s_setprio 0                                                // 000000004334: BF8F0000
	s_barrier                                                  // 000000004338: BF8A0000
	v_mov_b32_e32 v193, v192                                   // 00000000433C: 7F8203C0
	v_max3_f32 v193, v52, v53, v193                            // 000000004340: D1D300C1 07066B34
	v_max3_f32 v193, v54, v55, v193                            // 000000004348: D1D300C1 07066F36
	v_max3_f32 v193, v56, v57, v193                            // 000000004350: D1D300C1 07067338
	v_max3_f32 v193, v58, v59, v193                            // 000000004358: D1D300C1 0706773A
	v_max3_f32 v193, v60, v61, v193                            // 000000004360: D1D300C1 07067B3C
	v_max3_f32 v193, v62, v63, v193                            // 000000004368: D1D300C1 07067F3E
	v_max3_f32 v193, v64, v65, v193                            // 000000004370: D1D300C1 07068340
	v_max3_f32 v193, v66, v67, v193                            // 000000004378: D1D300C1 07068742
	v_max3_f32 v193, v68, v69, v193                            // 000000004380: D1D300C1 07068B44
	v_max3_f32 v193, v70, v71, v193                            // 000000004388: D1D300C1 07068F46
	v_max3_f32 v193, v72, v73, v193                            // 000000004390: D1D300C1 07069348
	v_max3_f32 v193, v74, v75, v193                            // 000000004398: D1D300C1 0706974A
	v_max3_f32 v193, v76, v77, v193                            // 0000000043A0: D1D300C1 07069B4C
	v_max3_f32 v193, v78, v79, v193                            // 0000000043A8: D1D300C1 07069F4E
	v_max3_f32 v193, v80, v81, v193                            // 0000000043B0: D1D300C1 0706A350
	v_max3_f32 v193, v82, v83, v193                            // 0000000043B8: D1D300C1 0706A752
	v_max3_f32 v193, v84, v85, v193                            // 0000000043C0: D1D300C1 0706AB54
	v_max3_f32 v193, v86, v87, v193                            // 0000000043C8: D1D300C1 0706AF56
	v_max3_f32 v193, v88, v89, v193                            // 0000000043D0: D1D300C1 0706B358
	v_max3_f32 v193, v90, v91, v193                            // 0000000043D8: D1D300C1 0706B75A
	v_max3_f32 v193, v92, v93, v193                            // 0000000043E0: D1D300C1 0706BB5C
	v_max3_f32 v193, v94, v95, v193                            // 0000000043E8: D1D300C1 0706BF5E
	v_max3_f32 v193, v96, v97, v193                            // 0000000043F0: D1D300C1 0706C360
	v_max3_f32 v193, v98, v99, v193                            // 0000000043F8: D1D300C1 0706C762
	v_max3_f32 v193, v100, v101, v193                          // 000000004400: D1D300C1 0706CB64
	v_max3_f32 v193, v102, v103, v193                          // 000000004408: D1D300C1 0706CF66
	v_max3_f32 v193, v104, v105, v193                          // 000000004410: D1D300C1 0706D368
	v_max3_f32 v193, v106, v107, v193                          // 000000004418: D1D300C1 0706D76A
	v_max3_f32 v193, v108, v109, v193                          // 000000004420: D1D300C1 0706DB6C
	v_max3_f32 v193, v110, v111, v193                          // 000000004428: D1D300C1 0706DF6E
	v_max3_f32 v193, v112, v113, v193                          // 000000004430: D1D300C1 0706E370
	v_max3_f32 v193, v114, v115, v193                          // 000000004438: D1D300C1 0706E772
	v_mov_b32_e32 v184, v193                                   // 000000004440: 7F7003C1
	s_nop 1                                                    // 000000004444: BF800001
	s_nop 0                                                    // 000000004448: BF800000
	v_permlane32_swap_b32_e32 v184, v193                       // 00000000444C: 7F70B5C1
	v_max_f32_e32 v193, v193, v184                             // 000000004450: 178371C1
	v_cmp_eq_u32_e64 s[66:67], v197, v193                      // 000000004454: D0CA0042 000383C5
	s_nop 0                                                    // 00000000445C: BF800000
	v_cndmask_b32_e64 v193, v193, 0, s[66:67]                  // 000000004460: D10000C1 010901C1
	v_mul_f32_e64 v184, -s26, v193                             // 000000004468: D10500B8 2003821A
	v_mov_b32_e32 v185, v184                                   // 000000004470: 7F7203B8
	v_pk_fma_f32 v[52:53], v[52:53], s[26:27], v[184:185]      // 000000004474: D3B04034 1EE03534
	v_pk_fma_f32 v[54:55], v[54:55], s[26:27], v[184:185]      // 00000000447C: D3B04036 1EE03536
	v_pk_fma_f32 v[56:57], v[56:57], s[26:27], v[184:185]      // 000000004484: D3B04038 1EE03538
	v_pk_fma_f32 v[58:59], v[58:59], s[26:27], v[184:185]      // 00000000448C: D3B0403A 1EE0353A
	v_pk_fma_f32 v[60:61], v[60:61], s[26:27], v[184:185]      // 000000004494: D3B0403C 1EE0353C
	v_pk_fma_f32 v[62:63], v[62:63], s[26:27], v[184:185]      // 00000000449C: D3B0403E 1EE0353E
	v_pk_fma_f32 v[64:65], v[64:65], s[26:27], v[184:185]      // 0000000044A4: D3B04040 1EE03540
	v_pk_fma_f32 v[66:67], v[66:67], s[26:27], v[184:185]      // 0000000044AC: D3B04042 1EE03542
	v_pk_fma_f32 v[68:69], v[68:69], s[26:27], v[184:185]      // 0000000044B4: D3B04044 1EE03544
	v_pk_fma_f32 v[70:71], v[70:71], s[26:27], v[184:185]      // 0000000044BC: D3B04046 1EE03546
	v_pk_fma_f32 v[72:73], v[72:73], s[26:27], v[184:185]      // 0000000044C4: D3B04048 1EE03548
	v_pk_fma_f32 v[74:75], v[74:75], s[26:27], v[184:185]      // 0000000044CC: D3B0404A 1EE0354A
	v_pk_fma_f32 v[76:77], v[76:77], s[26:27], v[184:185]      // 0000000044D4: D3B0404C 1EE0354C
	v_pk_fma_f32 v[78:79], v[78:79], s[26:27], v[184:185]      // 0000000044DC: D3B0404E 1EE0354E
	v_pk_fma_f32 v[80:81], v[80:81], s[26:27], v[184:185]      // 0000000044E4: D3B04050 1EE03550
	v_pk_fma_f32 v[82:83], v[82:83], s[26:27], v[184:185]      // 0000000044EC: D3B04052 1EE03552
	v_pk_fma_f32 v[84:85], v[84:85], s[26:27], v[184:185]      // 0000000044F4: D3B04054 1EE03554
	v_pk_fma_f32 v[86:87], v[86:87], s[26:27], v[184:185]      // 0000000044FC: D3B04056 1EE03556
	v_pk_fma_f32 v[88:89], v[88:89], s[26:27], v[184:185]      // 000000004504: D3B04058 1EE03558
	v_pk_fma_f32 v[90:91], v[90:91], s[26:27], v[184:185]      // 00000000450C: D3B0405A 1EE0355A
	v_pk_fma_f32 v[92:93], v[92:93], s[26:27], v[184:185]      // 000000004514: D3B0405C 1EE0355C
	v_pk_fma_f32 v[94:95], v[94:95], s[26:27], v[184:185]      // 00000000451C: D3B0405E 1EE0355E
	v_pk_fma_f32 v[96:97], v[96:97], s[26:27], v[184:185]      // 000000004524: D3B04060 1EE03560
	v_pk_fma_f32 v[98:99], v[98:99], s[26:27], v[184:185]      // 00000000452C: D3B04062 1EE03562
	v_pk_fma_f32 v[100:101], v[100:101], s[26:27], v[184:185]  // 000000004534: D3B04064 1EE03564
	v_pk_fma_f32 v[102:103], v[102:103], s[26:27], v[184:185]  // 00000000453C: D3B04066 1EE03566
	v_pk_fma_f32 v[104:105], v[104:105], s[26:27], v[184:185]  // 000000004544: D3B04068 1EE03568
	v_pk_fma_f32 v[106:107], v[106:107], s[26:27], v[184:185]  // 00000000454C: D3B0406A 1EE0356A
	v_pk_fma_f32 v[108:109], v[108:109], s[26:27], v[184:185]  // 000000004554: D3B0406C 1EE0356C
	v_pk_fma_f32 v[110:111], v[110:111], s[26:27], v[184:185]  // 00000000455C: D3B0406E 1EE0356E
	v_pk_fma_f32 v[112:113], v[112:113], s[26:27], v[184:185]  // 000000004564: D3B04070 1EE03570
	v_pk_fma_f32 v[114:115], v[114:115], s[26:27], v[184:185]  // 00000000456C: D3B04072 1EE03572
	s_barrier                                                  // 000000004574: BF8A0000
	v_exp_f32_e32 v52, v52                                     // 000000004578: 7E684134
	v_exp_f32_e32 v53, v53                                     // 00000000457C: 7E6A4135
	v_exp_f32_e32 v54, v54                                     // 000000004580: 7E6C4136
	v_exp_f32_e32 v55, v55                                     // 000000004584: 7E6E4137
	v_exp_f32_e32 v56, v56                                     // 000000004588: 7E704138
	v_exp_f32_e32 v57, v57                                     // 00000000458C: 7E724139
	v_exp_f32_e32 v58, v58                                     // 000000004590: 7E74413A
	v_exp_f32_e32 v59, v59                                     // 000000004594: 7E76413B
	v_exp_f32_e32 v60, v60                                     // 000000004598: 7E78413C
	v_exp_f32_e32 v61, v61                                     // 00000000459C: 7E7A413D
	v_exp_f32_e32 v62, v62                                     // 0000000045A0: 7E7C413E
	v_exp_f32_e32 v63, v63                                     // 0000000045A4: 7E7E413F
	v_exp_f32_e32 v64, v64                                     // 0000000045A8: 7E804140
	v_exp_f32_e32 v65, v65                                     // 0000000045AC: 7E824141
	v_exp_f32_e32 v66, v66                                     // 0000000045B0: 7E844142
	v_exp_f32_e32 v67, v67                                     // 0000000045B4: 7E864143
	v_exp_f32_e32 v68, v68                                     // 0000000045B8: 7E884144
	v_exp_f32_e32 v69, v69                                     // 0000000045BC: 7E8A4145
	v_exp_f32_e32 v70, v70                                     // 0000000045C0: 7E8C4146
	v_exp_f32_e32 v71, v71                                     // 0000000045C4: 7E8E4147
	v_exp_f32_e32 v72, v72                                     // 0000000045C8: 7E904148
	v_exp_f32_e32 v73, v73                                     // 0000000045CC: 7E924149
	v_exp_f32_e32 v74, v74                                     // 0000000045D0: 7E94414A
	v_exp_f32_e32 v75, v75                                     // 0000000045D4: 7E96414B
	v_exp_f32_e32 v76, v76                                     // 0000000045D8: 7E98414C
	v_exp_f32_e32 v77, v77                                     // 0000000045DC: 7E9A414D
	v_exp_f32_e32 v78, v78                                     // 0000000045E0: 7E9C414E
	v_exp_f32_e32 v79, v79                                     // 0000000045E4: 7E9E414F
	v_exp_f32_e32 v80, v80                                     // 0000000045E8: 7EA04150
	v_exp_f32_e32 v81, v81                                     // 0000000045EC: 7EA24151
	v_exp_f32_e32 v82, v82                                     // 0000000045F0: 7EA44152
	v_exp_f32_e32 v83, v83                                     // 0000000045F4: 7EA64153
	v_exp_f32_e32 v84, v84                                     // 0000000045F8: 7EA84154
	v_exp_f32_e32 v85, v85                                     // 0000000045FC: 7EAA4155
	v_exp_f32_e32 v86, v86                                     // 000000004600: 7EAC4156
	v_exp_f32_e32 v87, v87                                     // 000000004604: 7EAE4157
	v_exp_f32_e32 v88, v88                                     // 000000004608: 7EB04158
	v_exp_f32_e32 v89, v89                                     // 00000000460C: 7EB24159
	v_exp_f32_e32 v90, v90                                     // 000000004610: 7EB4415A
	v_exp_f32_e32 v91, v91                                     // 000000004614: 7EB6415B
	v_exp_f32_e32 v92, v92                                     // 000000004618: 7EB8415C
	v_exp_f32_e32 v93, v93                                     // 00000000461C: 7EBA415D
	v_exp_f32_e32 v94, v94                                     // 000000004620: 7EBC415E
	v_exp_f32_e32 v95, v95                                     // 000000004624: 7EBE415F
	v_exp_f32_e32 v96, v96                                     // 000000004628: 7EC04160
	v_exp_f32_e32 v97, v97                                     // 00000000462C: 7EC24161
	v_exp_f32_e32 v98, v98                                     // 000000004630: 7EC44162
	v_exp_f32_e32 v99, v99                                     // 000000004634: 7EC64163
	v_exp_f32_e32 v100, v100                                   // 000000004638: 7EC84164
	v_exp_f32_e32 v101, v101                                   // 00000000463C: 7ECA4165
	v_exp_f32_e32 v102, v102                                   // 000000004640: 7ECC4166
	v_exp_f32_e32 v103, v103                                   // 000000004644: 7ECE4167
	v_exp_f32_e32 v104, v104                                   // 000000004648: 7ED04168
	v_exp_f32_e32 v105, v105                                   // 00000000464C: 7ED24169
	v_exp_f32_e32 v106, v106                                   // 000000004650: 7ED4416A
	v_exp_f32_e32 v107, v107                                   // 000000004654: 7ED6416B
	v_exp_f32_e32 v108, v108                                   // 000000004658: 7ED8416C
	v_exp_f32_e32 v109, v109                                   // 00000000465C: 7EDA416D
	v_exp_f32_e32 v110, v110                                   // 000000004660: 7EDC416E
	v_exp_f32_e32 v111, v111                                   // 000000004664: 7EDE416F
	v_exp_f32_e32 v112, v112                                   // 000000004668: 7EE04170
	v_exp_f32_e32 v113, v113                                   // 00000000466C: 7EE24171
	v_exp_f32_e32 v114, v114                                   // 000000004670: 7EE44172
	v_exp_f32_e32 v115, v115                                   // 000000004674: 7EE64173
	v_sub_f32_e32 v188, v192, v193                             // 000000004678: 057983C0
	v_cmp_eq_u32_e64 s[66:67], v197, v192                      // 00000000467C: D0CA0042 000381C5
	s_nop 0                                                    // 000000004684: BF800000
	v_cndmask_b32_e64 v188, v188, 0, s[66:67]                  // 000000004688: D10000BC 010901BC
	v_mov_b32_e32 v192, v193                                   // 000000004690: 7F8003C1
	v_mul_f32_e32 v188, s26, v188                              // 000000004694: 0B79781A
	v_exp_f32_e32 v188, v188                                   // 000000004698: 7F7841BC
	s_nop 0                                                    // 00000000469C: BF800000
	v_mul_f32_e32 v190, v188, v190                             // 0000000046A0: 0B7D7DBC
	v_add_f32_e32 v190, v52, v190                              // 0000000046A4: 037D7D34
	v_add_f32_e32 v190, v53, v190                              // 0000000046A8: 037D7D35
	v_add_f32_e32 v190, v54, v190                              // 0000000046AC: 037D7D36
	v_add_f32_e32 v190, v55, v190                              // 0000000046B0: 037D7D37
	v_add_f32_e32 v190, v56, v190                              // 0000000046B4: 037D7D38
	v_add_f32_e32 v190, v57, v190                              // 0000000046B8: 037D7D39
	v_add_f32_e32 v190, v58, v190                              // 0000000046BC: 037D7D3A
	v_add_f32_e32 v190, v59, v190                              // 0000000046C0: 037D7D3B
	v_add_f32_e32 v190, v60, v190                              // 0000000046C4: 037D7D3C
	v_add_f32_e32 v190, v61, v190                              // 0000000046C8: 037D7D3D
	v_add_f32_e32 v190, v62, v190                              // 0000000046CC: 037D7D3E
	v_add_f32_e32 v190, v63, v190                              // 0000000046D0: 037D7D3F
	v_add_f32_e32 v190, v64, v190                              // 0000000046D4: 037D7D40
	v_add_f32_e32 v190, v65, v190                              // 0000000046D8: 037D7D41
	v_add_f32_e32 v190, v66, v190                              // 0000000046DC: 037D7D42
	v_add_f32_e32 v190, v67, v190                              // 0000000046E0: 037D7D43
	v_add_f32_e32 v190, v68, v190                              // 0000000046E4: 037D7D44
	v_add_f32_e32 v190, v69, v190                              // 0000000046E8: 037D7D45
	v_add_f32_e32 v190, v70, v190                              // 0000000046EC: 037D7D46
	v_add_f32_e32 v190, v71, v190                              // 0000000046F0: 037D7D47
	v_add_f32_e32 v190, v72, v190                              // 0000000046F4: 037D7D48
	v_add_f32_e32 v190, v73, v190                              // 0000000046F8: 037D7D49
	v_add_f32_e32 v190, v74, v190                              // 0000000046FC: 037D7D4A
	v_add_f32_e32 v190, v75, v190                              // 000000004700: 037D7D4B
	v_add_f32_e32 v190, v76, v190                              // 000000004704: 037D7D4C
	v_add_f32_e32 v190, v77, v190                              // 000000004708: 037D7D4D
	v_add_f32_e32 v190, v78, v190                              // 00000000470C: 037D7D4E
	v_add_f32_e32 v190, v79, v190                              // 000000004710: 037D7D4F
	v_add_f32_e32 v190, v80, v190                              // 000000004714: 037D7D50
	v_add_f32_e32 v190, v81, v190                              // 000000004718: 037D7D51
	v_add_f32_e32 v190, v82, v190                              // 00000000471C: 037D7D52
	v_add_f32_e32 v190, v83, v190                              // 000000004720: 037D7D53
	v_add_f32_e32 v190, v84, v190                              // 000000004724: 037D7D54
	v_add_f32_e32 v190, v85, v190                              // 000000004728: 037D7D55
	v_add_f32_e32 v190, v86, v190                              // 00000000472C: 037D7D56
	v_add_f32_e32 v190, v87, v190                              // 000000004730: 037D7D57
	v_add_f32_e32 v190, v88, v190                              // 000000004734: 037D7D58
	v_add_f32_e32 v190, v89, v190                              // 000000004738: 037D7D59
	v_add_f32_e32 v190, v90, v190                              // 00000000473C: 037D7D5A
	v_add_f32_e32 v190, v91, v190                              // 000000004740: 037D7D5B
	v_add_f32_e32 v190, v92, v190                              // 000000004744: 037D7D5C
	v_add_f32_e32 v190, v93, v190                              // 000000004748: 037D7D5D
	v_add_f32_e32 v190, v94, v190                              // 00000000474C: 037D7D5E
	v_add_f32_e32 v190, v95, v190                              // 000000004750: 037D7D5F
	v_add_f32_e32 v190, v96, v190                              // 000000004754: 037D7D60
	v_add_f32_e32 v190, v97, v190                              // 000000004758: 037D7D61
	v_add_f32_e32 v190, v98, v190                              // 00000000475C: 037D7D62
	v_add_f32_e32 v190, v99, v190                              // 000000004760: 037D7D63
	v_add_f32_e32 v190, v100, v190                             // 000000004764: 037D7D64
	v_add_f32_e32 v190, v101, v190                             // 000000004768: 037D7D65
	v_add_f32_e32 v190, v102, v190                             // 00000000476C: 037D7D66
	v_add_f32_e32 v190, v103, v190                             // 000000004770: 037D7D67
	v_add_f32_e32 v190, v104, v190                             // 000000004774: 037D7D68
	v_add_f32_e32 v190, v105, v190                             // 000000004778: 037D7D69
	v_add_f32_e32 v190, v106, v190                             // 00000000477C: 037D7D6A
	v_add_f32_e32 v190, v107, v190                             // 000000004780: 037D7D6B
	v_add_f32_e32 v190, v108, v190                             // 000000004784: 037D7D6C
	v_add_f32_e32 v190, v109, v190                             // 000000004788: 037D7D6D
	v_add_f32_e32 v190, v110, v190                             // 00000000478C: 037D7D6E
	v_add_f32_e32 v190, v111, v190                             // 000000004790: 037D7D6F
	v_add_f32_e32 v190, v112, v190                             // 000000004794: 037D7D70
	v_add_f32_e32 v190, v113, v190                             // 000000004798: 037D7D71
	v_add_f32_e32 v190, v114, v190                             // 00000000479C: 037D7D72
	v_add_f32_e32 v190, v115, v190                             // 0000000047A0: 037D7D73
	v_mul_f32_e32 v116, v188, v116                             // 0000000047A4: 0AE8E9BC
	v_mul_f32_e32 v117, v188, v117                             // 0000000047A8: 0AEAEBBC
	v_mul_f32_e32 v118, v188, v118                             // 0000000047AC: 0AECEDBC
	v_mul_f32_e32 v119, v188, v119                             // 0000000047B0: 0AEEEFBC
	v_mul_f32_e32 v120, v188, v120                             // 0000000047B4: 0AF0F1BC
	v_mul_f32_e32 v121, v188, v121                             // 0000000047B8: 0AF2F3BC
	v_mul_f32_e32 v122, v188, v122                             // 0000000047BC: 0AF4F5BC
	v_mul_f32_e32 v123, v188, v123                             // 0000000047C0: 0AF6F7BC
	v_mul_f32_e32 v124, v188, v124                             // 0000000047C4: 0AF8F9BC
	v_mul_f32_e32 v125, v188, v125                             // 0000000047C8: 0AFAFBBC
	v_mul_f32_e32 v126, v188, v126                             // 0000000047CC: 0AFCFDBC
	v_mul_f32_e32 v127, v188, v127                             // 0000000047D0: 0AFEFFBC
	v_mul_f32_e32 v128, v188, v128                             // 0000000047D4: 0B0101BC
	v_mul_f32_e32 v129, v188, v129                             // 0000000047D8: 0B0303BC
	v_mul_f32_e32 v130, v188, v130                             // 0000000047DC: 0B0505BC
	v_mul_f32_e32 v131, v188, v131                             // 0000000047E0: 0B0707BC
	v_mul_f32_e32 v132, v188, v132                             // 0000000047E4: 0B0909BC
	v_mul_f32_e32 v133, v188, v133                             // 0000000047E8: 0B0B0BBC
	v_mul_f32_e32 v134, v188, v134                             // 0000000047EC: 0B0D0DBC
	v_mul_f32_e32 v135, v188, v135                             // 0000000047F0: 0B0F0FBC
	v_mul_f32_e32 v136, v188, v136                             // 0000000047F4: 0B1111BC
	v_mul_f32_e32 v137, v188, v137                             // 0000000047F8: 0B1313BC
	v_mul_f32_e32 v138, v188, v138                             // 0000000047FC: 0B1515BC
	v_mul_f32_e32 v139, v188, v139                             // 000000004800: 0B1717BC
	v_mul_f32_e32 v140, v188, v140                             // 000000004804: 0B1919BC
	v_mul_f32_e32 v141, v188, v141                             // 000000004808: 0B1B1BBC
	v_mul_f32_e32 v142, v188, v142                             // 00000000480C: 0B1D1DBC
	v_mul_f32_e32 v143, v188, v143                             // 000000004810: 0B1F1FBC
	v_mul_f32_e32 v144, v188, v144                             // 000000004814: 0B2121BC
	v_mul_f32_e32 v145, v188, v145                             // 000000004818: 0B2323BC
	v_mul_f32_e32 v146, v188, v146                             // 00000000481C: 0B2525BC
	v_mul_f32_e32 v147, v188, v147                             // 000000004820: 0B2727BC
	v_mul_f32_e32 v148, v188, v148                             // 000000004824: 0B2929BC
	v_mul_f32_e32 v149, v188, v149                             // 000000004828: 0B2B2BBC
	v_mul_f32_e32 v150, v188, v150                             // 00000000482C: 0B2D2DBC
	v_mul_f32_e32 v151, v188, v151                             // 000000004830: 0B2F2FBC
	v_mul_f32_e32 v152, v188, v152                             // 000000004834: 0B3131BC
	v_mul_f32_e32 v153, v188, v153                             // 000000004838: 0B3333BC
	v_mul_f32_e32 v154, v188, v154                             // 00000000483C: 0B3535BC
	v_mul_f32_e32 v155, v188, v155                             // 000000004840: 0B3737BC
	v_mul_f32_e32 v156, v188, v156                             // 000000004844: 0B3939BC
	v_mul_f32_e32 v157, v188, v157                             // 000000004848: 0B3B3BBC
	v_mul_f32_e32 v158, v188, v158                             // 00000000484C: 0B3D3DBC
	v_mul_f32_e32 v159, v188, v159                             // 000000004850: 0B3F3FBC
	v_mul_f32_e32 v160, v188, v160                             // 000000004854: 0B4141BC
	v_mul_f32_e32 v161, v188, v161                             // 000000004858: 0B4343BC
	v_mul_f32_e32 v162, v188, v162                             // 00000000485C: 0B4545BC
	v_mul_f32_e32 v163, v188, v163                             // 000000004860: 0B4747BC
	v_mul_f32_e32 v164, v188, v164                             // 000000004864: 0B4949BC
	v_mul_f32_e32 v165, v188, v165                             // 000000004868: 0B4B4BBC
	v_mul_f32_e32 v166, v188, v166                             // 00000000486C: 0B4D4DBC
	v_mul_f32_e32 v167, v188, v167                             // 000000004870: 0B4F4FBC
	v_mul_f32_e32 v168, v188, v168                             // 000000004874: 0B5151BC
	v_mul_f32_e32 v169, v188, v169                             // 000000004878: 0B5353BC
	v_mul_f32_e32 v170, v188, v170                             // 00000000487C: 0B5555BC
	v_mul_f32_e32 v171, v188, v171                             // 000000004880: 0B5757BC
	v_mul_f32_e32 v172, v188, v172                             // 000000004884: 0B5959BC
	v_mul_f32_e32 v173, v188, v173                             // 000000004888: 0B5B5BBC
	v_mul_f32_e32 v174, v188, v174                             // 00000000488C: 0B5D5DBC
	v_mul_f32_e32 v175, v188, v175                             // 000000004890: 0B5F5FBC
	v_mul_f32_e32 v176, v188, v176                             // 000000004894: 0B6161BC
	v_mul_f32_e32 v177, v188, v177                             // 000000004898: 0B6363BC
	v_mul_f32_e32 v178, v188, v178                             // 00000000489C: 0B6565BC
	v_mul_f32_e32 v179, v188, v179                             // 0000000048A0: 0B6767BC
	v_mov_b32_e32 v189, v188                                   // 0000000048A4: 7F7A03BC
	s_barrier                                                  // 0000000048A8: BF8A0000
	v_cvt_pk_fp8_f32 v52, v52, v53                             // 0000000048AC: D2A20034 00026B34
	v_cvt_pk_fp8_f32 v52, v54, v55 op_sel:[0,0,1]              // 0000000048B4: D2A24034 00026F36
	v_cvt_pk_fp8_f32 v53, v56, v57                             // 0000000048BC: D2A20035 00027338
	v_cvt_pk_fp8_f32 v53, v58, v59 op_sel:[0,0,1]              // 0000000048C4: D2A24035 0002773A
	v_cvt_pk_fp8_f32 v54, v60, v61                             // 0000000048CC: D2A20036 00027B3C
	v_cvt_pk_fp8_f32 v54, v62, v63 op_sel:[0,0,1]              // 0000000048D4: D2A24036 00027F3E
	v_cvt_pk_fp8_f32 v55, v64, v65                             // 0000000048DC: D2A20037 00028340
	v_cvt_pk_fp8_f32 v55, v66, v67 op_sel:[0,0,1]              // 0000000048E4: D2A24037 00028742
	v_cvt_pk_fp8_f32 v56, v68, v69                             // 0000000048EC: D2A20038 00028B44
	v_cvt_pk_fp8_f32 v56, v70, v71 op_sel:[0,0,1]              // 0000000048F4: D2A24038 00028F46
	v_cvt_pk_fp8_f32 v57, v72, v73                             // 0000000048FC: D2A20039 00029348
	v_cvt_pk_fp8_f32 v57, v74, v75 op_sel:[0,0,1]              // 000000004904: D2A24039 0002974A
	v_cvt_pk_fp8_f32 v58, v76, v77                             // 00000000490C: D2A2003A 00029B4C
	v_cvt_pk_fp8_f32 v58, v78, v79 op_sel:[0,0,1]              // 000000004914: D2A2403A 00029F4E
	v_cvt_pk_fp8_f32 v59, v80, v81                             // 00000000491C: D2A2003B 0002A350
	v_cvt_pk_fp8_f32 v59, v82, v83 op_sel:[0,0,1]              // 000000004924: D2A2403B 0002A752
	v_cvt_pk_fp8_f32 v60, v84, v85                             // 00000000492C: D2A2003C 0002AB54
	v_cvt_pk_fp8_f32 v60, v86, v87 op_sel:[0,0,1]              // 000000004934: D2A2403C 0002AF56
	v_cvt_pk_fp8_f32 v61, v88, v89                             // 00000000493C: D2A2003D 0002B358
	v_cvt_pk_fp8_f32 v61, v90, v91 op_sel:[0,0,1]              // 000000004944: D2A2403D 0002B75A
	v_cvt_pk_fp8_f32 v62, v92, v93                             // 00000000494C: D2A2003E 0002BB5C
	v_cvt_pk_fp8_f32 v62, v94, v95 op_sel:[0,0,1]              // 000000004954: D2A2403E 0002BF5E
	v_cvt_pk_fp8_f32 v63, v96, v97                             // 00000000495C: D2A2003F 0002C360
	v_cvt_pk_fp8_f32 v63, v98, v99 op_sel:[0,0,1]              // 000000004964: D2A2403F 0002C762
	v_cvt_pk_fp8_f32 v64, v100, v101                           // 00000000496C: D2A20040 0002CB64
	v_cvt_pk_fp8_f32 v64, v102, v103 op_sel:[0,0,1]            // 000000004974: D2A24040 0002CF66
	v_cvt_pk_fp8_f32 v65, v104, v105                           // 00000000497C: D2A20041 0002D368
	v_cvt_pk_fp8_f32 v65, v106, v107 op_sel:[0,0,1]            // 000000004984: D2A24041 0002D76A
	v_cvt_pk_fp8_f32 v66, v108, v109                           // 00000000498C: D2A20042 0002DB6C
	v_cvt_pk_fp8_f32 v66, v110, v111 op_sel:[0,0,1]            // 000000004994: D2A24042 0002DF6E
	v_cvt_pk_fp8_f32 v67, v112, v113                           // 00000000499C: D2A20043 0002E370
	v_cvt_pk_fp8_f32 v67, v114, v115 op_sel:[0,0,1]            // 0000000049A4: D2A24043 0002E772
	s_barrier                                                  // 0000000049AC: BF8A0000
	s_waitcnt vmcnt(0)                                         // 0000000049B0: BF8C0F70
	s_waitcnt lgkmcnt(8)                                       // 0000000049B4: BF8CC87F
	s_setprio 1                                                // 0000000049B8: BF8F0001
	s_barrier                                                  // 0000000049BC: BF8A0000
	v_mfma_f32_32x32x64_f8f6f4 v[116:131], v[20:27], v[52:59], v[116:131]// 0000000049C0: D3AE0074 05D26914
	ds_read_b64_tr_b8 v[36:37], v219 offset:32                 // 0000000049C8: D9C40020 240000DB
	ds_read_b64_tr_b8 v[38:39], v219 offset:288                // 0000000049D0: D9C40120 260000DB
	ds_read_b64_tr_b8 v[40:41], v219 offset:544                // 0000000049D8: D9C40220 280000DB
	ds_read_b64_tr_b8 v[42:43], v219 offset:800                // 0000000049E0: D9C40320 2A0000DB
	s_waitcnt lgkmcnt(8)                                       // 0000000049E8: BF8CC87F
	v_mfma_f32_32x32x64_f8f6f4 v[116:131], v[28:35], v[60:67], v[116:131]// 0000000049EC: D3AE0074 05D2791C
	ds_read_b64_tr_b8 v[44:45], v219 offset:8352               // 0000000049F4: D9C420A0 2C0000DB
	ds_read_b64_tr_b8 v[46:47], v219 offset:8608               // 0000000049FC: D9C421A0 2E0000DB
	ds_read_b64_tr_b8 v[48:49], v219 offset:8864               // 000000004A04: D9C422A0 300000DB
	ds_read_b64_tr_b8 v[50:51], v219 offset:9120               // 000000004A0C: D9C423A0 320000DB
	s_waitcnt lgkmcnt(8)                                       // 000000004A14: BF8CC87F
	v_mfma_f32_32x32x64_f8f6f4 v[132:147], v[36:43], v[52:59], v[132:147]// 000000004A18: D3AE0084 06126924
	ds_read_b64_tr_b8 v[20:21], v219 offset:64                 // 000000004A20: D9C40040 140000DB
	ds_read_b64_tr_b8 v[22:23], v219 offset:320                // 000000004A28: D9C40140 160000DB
	ds_read_b64_tr_b8 v[24:25], v219 offset:576                // 000000004A30: D9C40240 180000DB
	ds_read_b64_tr_b8 v[26:27], v219 offset:832                // 000000004A38: D9C40340 1A0000DB
	s_waitcnt lgkmcnt(8)                                       // 000000004A40: BF8CC87F
	v_mfma_f32_32x32x64_f8f6f4 v[132:147], v[44:51], v[60:67], v[132:147]// 000000004A44: D3AE0084 0612792C
	ds_read_b64_tr_b8 v[28:29], v219 offset:8384               // 000000004A4C: D9C420C0 1C0000DB
	ds_read_b64_tr_b8 v[30:31], v219 offset:8640               // 000000004A54: D9C421C0 1E0000DB
	ds_read_b64_tr_b8 v[32:33], v219 offset:8896               // 000000004A5C: D9C422C0 200000DB
	ds_read_b64_tr_b8 v[34:35], v219 offset:9152               // 000000004A64: D9C423C0 220000DB
	s_waitcnt lgkmcnt(8)                                       // 000000004A6C: BF8CC87F
	v_mfma_f32_32x32x64_f8f6f4 v[148:163], v[20:27], v[52:59], v[148:163]// 000000004A70: D3AE0094 06526914
	ds_read_b64_tr_b8 v[36:37], v219 offset:96                 // 000000004A78: D9C40060 240000DB
	ds_read_b64_tr_b8 v[38:39], v219 offset:352                // 000000004A80: D9C40160 260000DB
	ds_read_b64_tr_b8 v[40:41], v219 offset:608                // 000000004A88: D9C40260 280000DB
	ds_read_b64_tr_b8 v[42:43], v219 offset:864                // 000000004A90: D9C40360 2A0000DB
	s_waitcnt lgkmcnt(8)                                       // 000000004A98: BF8CC87F
	v_mfma_f32_32x32x64_f8f6f4 v[148:163], v[28:35], v[60:67], v[148:163]// 000000004A9C: D3AE0094 0652791C
	ds_read_b64_tr_b8 v[44:45], v219 offset:8416               // 000000004AA4: D9C420E0 2C0000DB
	ds_read_b64_tr_b8 v[46:47], v219 offset:8672               // 000000004AAC: D9C421E0 2E0000DB
	ds_read_b64_tr_b8 v[48:49], v219 offset:8928               // 000000004AB4: D9C422E0 300000DB
	ds_read_b64_tr_b8 v[50:51], v219 offset:9184               // 000000004ABC: D9C423E0 320000DB
	s_waitcnt lgkmcnt(8)                                       // 000000004AC4: BF8CC87F
	v_mfma_f32_32x32x64_f8f6f4 v[164:179], v[36:43], v[52:59], v[164:179]// 000000004AC8: D3AE00A4 06926924
	ds_read_b128 v[20:23], v218 offset:16640                   // 000000004AD0: D9FE4100 140000DA
	ds_read_b128 v[24:27], v218 offset:16672                   // 000000004AD8: D9FE4120 180000DA
	s_waitcnt lgkmcnt(6)                                       // 000000004AE0: BF8CC67F
	v_mfma_f32_32x32x64_f8f6f4 v[164:179], v[44:51], v[60:67], v[164:179]// 000000004AE4: D3AE00A4 0692792C
	ds_read_b128 v[28:31], v218 offset:20800                   // 000000004AEC: D9FE5140 1C0000DA
	ds_read_b128 v[32:35], v218 offset:20832                   // 000000004AF4: D9FE5160 200000DA
	s_addk_i32 s68, 0x80                                       // 000000004AFC: B7440080
	s_cmp_lt_i32 s68, s69                                      // 000000004B00: BF044544
	s_cbranch_scc0 label_3B04                                  // 000000004B04: BF840ABF
	s_waitcnt lgkmcnt(2)                                       // 000000004B08: BF8CC27F
	v_mfma_f32_32x32x64_f8f6f4 v[52:67], v[20:27], v[4:11], 0  // 000000004B0C: D3AE0034 02020914
	v_mul_i32_i24_dpp v184, v180, v222 quad_perm:[0,0,0,0] row_mask:0xf bank_mask:0xf// 000000004B14: 0D71BCFA FF0000B4
	v_mul_i32_i24_dpp v185, v180, v222 quad_perm:[1,1,1,1] row_mask:0xf bank_mask:0xf// 000000004B1C: 0D73BCFA FF0055B4
	v_add_u32_e32 v211, v210, v184                             // 000000004B24: 69A771D2
	v_add_u32_e32 v212, v210, v185                             // 000000004B28: 69A973D2
	ds_read_b128 v[36:39], v218 offset:17152                   // 000000004B2C: D9FE4300 240000DA
	ds_read_b128 v[40:43], v218 offset:17184                   // 000000004B34: D9FE4320 280000DA
	s_waitcnt lgkmcnt(2)                                       // 000000004B3C: BF8CC27F
	v_mfma_f32_32x32x64_f8f6f4 v[52:67], v[28:35], v[12:19], v[52:67]// 000000004B40: D3AE0034 04D2191C
	s_add_u32 m0, s71, 0                                       // 000000004B48: 807C8047
	buffer_load_dwordx4 v211, s[12:15], 0 offen lds            // 000000004B4C: E05D1000 800300D3
	ds_read_b128 v[44:47], v218 offset:21312                   // 000000004B54: D9FE5340 2C0000DA
	ds_read_b128 v[48:51], v218 offset:21344                   // 000000004B5C: D9FE5360 300000DA
	s_waitcnt lgkmcnt(2)                                       // 000000004B64: BF8CC27F
	v_mfma_f32_32x32x64_f8f6f4 v[68:83], v[36:43], v[4:11], 0  // 000000004B68: D3AE0044 02020924
	s_add_u32 m0, s71, 0x410                                   // 000000004B70: 807CFF47 00000410
	buffer_load_dwordx4 v212, s[12:15], 0 offen lds            // 000000004B78: E05D1000 800300D4
	ds_read_b128 v[20:23], v218 offset:24960                   // 000000004B80: D9FE6180 140000DA
	ds_read_b128 v[24:27], v218 offset:24992                   // 000000004B88: D9FE61A0 180000DA
	s_waitcnt lgkmcnt(2)                                       // 000000004B90: BF8CC27F
	v_mfma_f32_32x32x64_f8f6f4 v[68:83], v[44:51], v[12:19], v[68:83]// 000000004B94: D3AE0044 0512192C
	s_add_u32 m0, s71, 0x1000                                  // 000000004B9C: 807CFF47 00001000
	buffer_load_dwordx4 v211, s[12:15], 0 offen offset:64 lds  // 000000004BA4: E05D1040 800300D3
	ds_read_b128 v[28:31], v218 offset:29120                   // 000000004BAC: D9FE71C0 1C0000DA
	ds_read_b128 v[32:35], v218 offset:29152                   // 000000004BB4: D9FE71E0 200000DA
	s_waitcnt lgkmcnt(2)                                       // 000000004BBC: BF8CC27F
	v_mfma_f32_32x32x64_f8f6f4 v[84:99], v[20:27], v[4:11], 0  // 000000004BC0: D3AE0054 02020914
	s_add_u32 m0, s71, 0x1410                                  // 000000004BC8: 807CFF47 00001410
	buffer_load_dwordx4 v212, s[12:15], 0 offen offset:64 lds  // 000000004BD0: E05D1040 800300D4
	ds_read_b128 v[36:39], v218 offset:25472                   // 000000004BD8: D9FE6380 240000DA
	ds_read_b128 v[40:43], v218 offset:25504                   // 000000004BE0: D9FE63A0 280000DA
	s_waitcnt lgkmcnt(2)                                       // 000000004BE8: BF8CC27F
	v_mfma_f32_32x32x64_f8f6f4 v[84:99], v[28:35], v[12:19], v[84:99]// 000000004BEC: D3AE0054 0552191C
	ds_read_b128 v[44:47], v218 offset:29632                   // 000000004BF4: D9FE73C0 2C0000DA
	ds_read_b128 v[48:51], v218 offset:29664                   // 000000004BFC: D9FE73E0 300000DA
	s_waitcnt lgkmcnt(2)                                       // 000000004C04: BF8CC27F
	v_mfma_f32_32x32x64_f8f6f4 v[100:115], v[36:43], v[4:11], 0// 000000004C08: D3AE0064 02020924
	s_barrier                                                  // 000000004C10: BF8A0000
	ds_read_b64_tr_b8 v[20:21], v219 offset:16640              // 000000004C14: D9C44100 140000DB
	ds_read_b64_tr_b8 v[22:23], v219 offset:16896              // 000000004C1C: D9C44200 160000DB
	ds_read_b64_tr_b8 v[24:25], v219 offset:17152              // 000000004C24: D9C44300 180000DB
	ds_read_b64_tr_b8 v[26:27], v219 offset:17408              // 000000004C2C: D9C44400 1A0000DB
	s_waitcnt lgkmcnt(4)                                       // 000000004C34: BF8CC47F
	v_mfma_f32_32x32x64_f8f6f4 v[100:115], v[44:51], v[12:19], v[100:115]// 000000004C38: D3AE0064 0592192C
	ds_read_b64_tr_b8 v[28:29], v219 offset:24960              // 000000004C40: D9C46180 1C0000DB
	ds_read_b64_tr_b8 v[30:31], v219 offset:25216              // 000000004C48: D9C46280 1E0000DB
	ds_read_b64_tr_b8 v[32:33], v219 offset:25472              // 000000004C50: D9C46380 200000DB
	ds_read_b64_tr_b8 v[34:35], v219 offset:25728              // 000000004C58: D9C46480 220000DB
	s_nop 5                                                    // 000000004C60: BF800005
	s_barrier                                                  // 000000004C64: BF8A0000
	s_setprio 0                                                // 000000004C68: BF8F0000
	s_barrier                                                  // 000000004C6C: BF8A0000
	v_mov_b32_e32 v193, v192                                   // 000000004C70: 7F8203C0
	v_max3_f32 v193, v52, v53, v193                            // 000000004C74: D1D300C1 07066B34
	v_max3_f32 v193, v54, v55, v193                            // 000000004C7C: D1D300C1 07066F36
	v_max3_f32 v193, v56, v57, v193                            // 000000004C84: D1D300C1 07067338
	v_max3_f32 v193, v58, v59, v193                            // 000000004C8C: D1D300C1 0706773A
	v_max3_f32 v193, v60, v61, v193                            // 000000004C94: D1D300C1 07067B3C
	v_max3_f32 v193, v62, v63, v193                            // 000000004C9C: D1D300C1 07067F3E
	v_max3_f32 v193, v64, v65, v193                            // 000000004CA4: D1D300C1 07068340
	v_max3_f32 v193, v66, v67, v193                            // 000000004CAC: D1D300C1 07068742
	v_max3_f32 v193, v68, v69, v193                            // 000000004CB4: D1D300C1 07068B44
	v_max3_f32 v193, v70, v71, v193                            // 000000004CBC: D1D300C1 07068F46
	v_max3_f32 v193, v72, v73, v193                            // 000000004CC4: D1D300C1 07069348
	v_max3_f32 v193, v74, v75, v193                            // 000000004CCC: D1D300C1 0706974A
	v_max3_f32 v193, v76, v77, v193                            // 000000004CD4: D1D300C1 07069B4C
	v_max3_f32 v193, v78, v79, v193                            // 000000004CDC: D1D300C1 07069F4E
	v_max3_f32 v193, v80, v81, v193                            // 000000004CE4: D1D300C1 0706A350
	v_max3_f32 v193, v82, v83, v193                            // 000000004CEC: D1D300C1 0706A752
	v_max3_f32 v193, v84, v85, v193                            // 000000004CF4: D1D300C1 0706AB54
	v_max3_f32 v193, v86, v87, v193                            // 000000004CFC: D1D300C1 0706AF56
	v_max3_f32 v193, v88, v89, v193                            // 000000004D04: D1D300C1 0706B358
	v_max3_f32 v193, v90, v91, v193                            // 000000004D0C: D1D300C1 0706B75A
	v_max3_f32 v193, v92, v93, v193                            // 000000004D14: D1D300C1 0706BB5C
	v_max3_f32 v193, v94, v95, v193                            // 000000004D1C: D1D300C1 0706BF5E
	v_max3_f32 v193, v96, v97, v193                            // 000000004D24: D1D300C1 0706C360
	v_max3_f32 v193, v98, v99, v193                            // 000000004D2C: D1D300C1 0706C762
	v_max3_f32 v193, v100, v101, v193                          // 000000004D34: D1D300C1 0706CB64
	v_max3_f32 v193, v102, v103, v193                          // 000000004D3C: D1D300C1 0706CF66
	v_max3_f32 v193, v104, v105, v193                          // 000000004D44: D1D300C1 0706D368
	v_max3_f32 v193, v106, v107, v193                          // 000000004D4C: D1D300C1 0706D76A
	v_max3_f32 v193, v108, v109, v193                          // 000000004D54: D1D300C1 0706DB6C
	v_max3_f32 v193, v110, v111, v193                          // 000000004D5C: D1D300C1 0706DF6E
	v_max3_f32 v193, v112, v113, v193                          // 000000004D64: D1D300C1 0706E370
	v_max3_f32 v193, v114, v115, v193                          // 000000004D6C: D1D300C1 0706E772
	v_mov_b32_e32 v184, v193                                   // 000000004D74: 7F7003C1
	s_nop 1                                                    // 000000004D78: BF800001
	s_nop 0                                                    // 000000004D7C: BF800000
	v_permlane32_swap_b32_e32 v184, v193                       // 000000004D80: 7F70B5C1
	v_max_f32_e32 v193, v193, v184                             // 000000004D84: 178371C1
	v_cmp_eq_u32_e64 s[66:67], v197, v193                      // 000000004D88: D0CA0042 000383C5
	s_nop 0                                                    // 000000004D90: BF800000
	v_cndmask_b32_e64 v193, v193, 0, s[66:67]                  // 000000004D94: D10000C1 010901C1
	v_mul_f32_e64 v184, -s26, v193                             // 000000004D9C: D10500B8 2003821A
	v_mov_b32_e32 v185, v184                                   // 000000004DA4: 7F7203B8
	v_pk_fma_f32 v[52:53], v[52:53], s[26:27], v[184:185]      // 000000004DA8: D3B04034 1EE03534
	v_pk_fma_f32 v[54:55], v[54:55], s[26:27], v[184:185]      // 000000004DB0: D3B04036 1EE03536
	v_pk_fma_f32 v[56:57], v[56:57], s[26:27], v[184:185]      // 000000004DB8: D3B04038 1EE03538
	v_pk_fma_f32 v[58:59], v[58:59], s[26:27], v[184:185]      // 000000004DC0: D3B0403A 1EE0353A
	v_pk_fma_f32 v[60:61], v[60:61], s[26:27], v[184:185]      // 000000004DC8: D3B0403C 1EE0353C
	v_pk_fma_f32 v[62:63], v[62:63], s[26:27], v[184:185]      // 000000004DD0: D3B0403E 1EE0353E
	v_pk_fma_f32 v[64:65], v[64:65], s[26:27], v[184:185]      // 000000004DD8: D3B04040 1EE03540
	v_pk_fma_f32 v[66:67], v[66:67], s[26:27], v[184:185]      // 000000004DE0: D3B04042 1EE03542
	v_pk_fma_f32 v[68:69], v[68:69], s[26:27], v[184:185]      // 000000004DE8: D3B04044 1EE03544
	v_pk_fma_f32 v[70:71], v[70:71], s[26:27], v[184:185]      // 000000004DF0: D3B04046 1EE03546
	v_pk_fma_f32 v[72:73], v[72:73], s[26:27], v[184:185]      // 000000004DF8: D3B04048 1EE03548
	v_pk_fma_f32 v[74:75], v[74:75], s[26:27], v[184:185]      // 000000004E00: D3B0404A 1EE0354A
	v_pk_fma_f32 v[76:77], v[76:77], s[26:27], v[184:185]      // 000000004E08: D3B0404C 1EE0354C
	v_pk_fma_f32 v[78:79], v[78:79], s[26:27], v[184:185]      // 000000004E10: D3B0404E 1EE0354E
	v_pk_fma_f32 v[80:81], v[80:81], s[26:27], v[184:185]      // 000000004E18: D3B04050 1EE03550
	v_pk_fma_f32 v[82:83], v[82:83], s[26:27], v[184:185]      // 000000004E20: D3B04052 1EE03552
	v_pk_fma_f32 v[84:85], v[84:85], s[26:27], v[184:185]      // 000000004E28: D3B04054 1EE03554
	v_pk_fma_f32 v[86:87], v[86:87], s[26:27], v[184:185]      // 000000004E30: D3B04056 1EE03556
	v_pk_fma_f32 v[88:89], v[88:89], s[26:27], v[184:185]      // 000000004E38: D3B04058 1EE03558
	v_pk_fma_f32 v[90:91], v[90:91], s[26:27], v[184:185]      // 000000004E40: D3B0405A 1EE0355A
	v_pk_fma_f32 v[92:93], v[92:93], s[26:27], v[184:185]      // 000000004E48: D3B0405C 1EE0355C
	v_pk_fma_f32 v[94:95], v[94:95], s[26:27], v[184:185]      // 000000004E50: D3B0405E 1EE0355E
	v_pk_fma_f32 v[96:97], v[96:97], s[26:27], v[184:185]      // 000000004E58: D3B04060 1EE03560
	v_pk_fma_f32 v[98:99], v[98:99], s[26:27], v[184:185]      // 000000004E60: D3B04062 1EE03562
	v_pk_fma_f32 v[100:101], v[100:101], s[26:27], v[184:185]  // 000000004E68: D3B04064 1EE03564
	v_pk_fma_f32 v[102:103], v[102:103], s[26:27], v[184:185]  // 000000004E70: D3B04066 1EE03566
	v_pk_fma_f32 v[104:105], v[104:105], s[26:27], v[184:185]  // 000000004E78: D3B04068 1EE03568
	v_pk_fma_f32 v[106:107], v[106:107], s[26:27], v[184:185]  // 000000004E80: D3B0406A 1EE0356A
	v_pk_fma_f32 v[108:109], v[108:109], s[26:27], v[184:185]  // 000000004E88: D3B0406C 1EE0356C
	v_pk_fma_f32 v[110:111], v[110:111], s[26:27], v[184:185]  // 000000004E90: D3B0406E 1EE0356E
	v_pk_fma_f32 v[112:113], v[112:113], s[26:27], v[184:185]  // 000000004E98: D3B04070 1EE03570
	v_pk_fma_f32 v[114:115], v[114:115], s[26:27], v[184:185]  // 000000004EA0: D3B04072 1EE03572
	s_barrier                                                  // 000000004EA8: BF8A0000
	v_exp_f32_e32 v52, v52                                     // 000000004EAC: 7E684134
	v_exp_f32_e32 v53, v53                                     // 000000004EB0: 7E6A4135
	v_exp_f32_e32 v54, v54                                     // 000000004EB4: 7E6C4136
	v_exp_f32_e32 v55, v55                                     // 000000004EB8: 7E6E4137
	v_exp_f32_e32 v56, v56                                     // 000000004EBC: 7E704138
	v_exp_f32_e32 v57, v57                                     // 000000004EC0: 7E724139
	v_exp_f32_e32 v58, v58                                     // 000000004EC4: 7E74413A
	v_exp_f32_e32 v59, v59                                     // 000000004EC8: 7E76413B
	v_exp_f32_e32 v60, v60                                     // 000000004ECC: 7E78413C
	v_exp_f32_e32 v61, v61                                     // 000000004ED0: 7E7A413D
	v_exp_f32_e32 v62, v62                                     // 000000004ED4: 7E7C413E
	v_exp_f32_e32 v63, v63                                     // 000000004ED8: 7E7E413F
	v_exp_f32_e32 v64, v64                                     // 000000004EDC: 7E804140
	v_exp_f32_e32 v65, v65                                     // 000000004EE0: 7E824141
	v_exp_f32_e32 v66, v66                                     // 000000004EE4: 7E844142
	v_exp_f32_e32 v67, v67                                     // 000000004EE8: 7E864143
	v_exp_f32_e32 v68, v68                                     // 000000004EEC: 7E884144
	v_exp_f32_e32 v69, v69                                     // 000000004EF0: 7E8A4145
	v_exp_f32_e32 v70, v70                                     // 000000004EF4: 7E8C4146
	v_exp_f32_e32 v71, v71                                     // 000000004EF8: 7E8E4147
	v_exp_f32_e32 v72, v72                                     // 000000004EFC: 7E904148
	v_exp_f32_e32 v73, v73                                     // 000000004F00: 7E924149
	v_exp_f32_e32 v74, v74                                     // 000000004F04: 7E94414A
	v_exp_f32_e32 v75, v75                                     // 000000004F08: 7E96414B
	v_exp_f32_e32 v76, v76                                     // 000000004F0C: 7E98414C
	v_exp_f32_e32 v77, v77                                     // 000000004F10: 7E9A414D
	v_exp_f32_e32 v78, v78                                     // 000000004F14: 7E9C414E
	v_exp_f32_e32 v79, v79                                     // 000000004F18: 7E9E414F
	v_exp_f32_e32 v80, v80                                     // 000000004F1C: 7EA04150
	v_exp_f32_e32 v81, v81                                     // 000000004F20: 7EA24151
	v_exp_f32_e32 v82, v82                                     // 000000004F24: 7EA44152
	v_exp_f32_e32 v83, v83                                     // 000000004F28: 7EA64153
	v_exp_f32_e32 v84, v84                                     // 000000004F2C: 7EA84154
	v_exp_f32_e32 v85, v85                                     // 000000004F30: 7EAA4155
	v_exp_f32_e32 v86, v86                                     // 000000004F34: 7EAC4156
	v_exp_f32_e32 v87, v87                                     // 000000004F38: 7EAE4157
	v_exp_f32_e32 v88, v88                                     // 000000004F3C: 7EB04158
	v_exp_f32_e32 v89, v89                                     // 000000004F40: 7EB24159
	v_exp_f32_e32 v90, v90                                     // 000000004F44: 7EB4415A
	v_exp_f32_e32 v91, v91                                     // 000000004F48: 7EB6415B
	v_exp_f32_e32 v92, v92                                     // 000000004F4C: 7EB8415C
	v_exp_f32_e32 v93, v93                                     // 000000004F50: 7EBA415D
	v_exp_f32_e32 v94, v94                                     // 000000004F54: 7EBC415E
	v_exp_f32_e32 v95, v95                                     // 000000004F58: 7EBE415F
	v_exp_f32_e32 v96, v96                                     // 000000004F5C: 7EC04160
	v_exp_f32_e32 v97, v97                                     // 000000004F60: 7EC24161
	v_exp_f32_e32 v98, v98                                     // 000000004F64: 7EC44162
	v_exp_f32_e32 v99, v99                                     // 000000004F68: 7EC64163
	v_exp_f32_e32 v100, v100                                   // 000000004F6C: 7EC84164
	v_exp_f32_e32 v101, v101                                   // 000000004F70: 7ECA4165
	v_exp_f32_e32 v102, v102                                   // 000000004F74: 7ECC4166
	v_exp_f32_e32 v103, v103                                   // 000000004F78: 7ECE4167
	v_exp_f32_e32 v104, v104                                   // 000000004F7C: 7ED04168
	v_exp_f32_e32 v105, v105                                   // 000000004F80: 7ED24169
	v_exp_f32_e32 v106, v106                                   // 000000004F84: 7ED4416A
	v_exp_f32_e32 v107, v107                                   // 000000004F88: 7ED6416B
	v_exp_f32_e32 v108, v108                                   // 000000004F8C: 7ED8416C
	v_exp_f32_e32 v109, v109                                   // 000000004F90: 7EDA416D
	v_exp_f32_e32 v110, v110                                   // 000000004F94: 7EDC416E
	v_exp_f32_e32 v111, v111                                   // 000000004F98: 7EDE416F
	v_exp_f32_e32 v112, v112                                   // 000000004F9C: 7EE04170
	v_exp_f32_e32 v113, v113                                   // 000000004FA0: 7EE24171
	v_exp_f32_e32 v114, v114                                   // 000000004FA4: 7EE44172
	v_exp_f32_e32 v115, v115                                   // 000000004FA8: 7EE64173
	v_sub_f32_e32 v188, v192, v193                             // 000000004FAC: 057983C0
	v_cmp_eq_u32_e64 s[66:67], v197, v192                      // 000000004FB0: D0CA0042 000381C5
	s_nop 0                                                    // 000000004FB8: BF800000
	v_cndmask_b32_e64 v188, v188, 0, s[66:67]                  // 000000004FBC: D10000BC 010901BC
	v_mov_b32_e32 v192, v193                                   // 000000004FC4: 7F8003C1
	v_mul_f32_e32 v188, s26, v188                              // 000000004FC8: 0B79781A
	v_exp_f32_e32 v188, v188                                   // 000000004FCC: 7F7841BC
	s_nop 0                                                    // 000000004FD0: BF800000
	v_mul_f32_e32 v190, v188, v190                             // 000000004FD4: 0B7D7DBC
	v_add_f32_e32 v190, v52, v190                              // 000000004FD8: 037D7D34
	v_add_f32_e32 v190, v53, v190                              // 000000004FDC: 037D7D35
	v_add_f32_e32 v190, v54, v190                              // 000000004FE0: 037D7D36
	v_add_f32_e32 v190, v55, v190                              // 000000004FE4: 037D7D37
	v_add_f32_e32 v190, v56, v190                              // 000000004FE8: 037D7D38
	v_add_f32_e32 v190, v57, v190                              // 000000004FEC: 037D7D39
	v_add_f32_e32 v190, v58, v190                              // 000000004FF0: 037D7D3A
	v_add_f32_e32 v190, v59, v190                              // 000000004FF4: 037D7D3B
	v_add_f32_e32 v190, v60, v190                              // 000000004FF8: 037D7D3C
	v_add_f32_e32 v190, v61, v190                              // 000000004FFC: 037D7D3D
	v_add_f32_e32 v190, v62, v190                              // 000000005000: 037D7D3E
	v_add_f32_e32 v190, v63, v190                              // 000000005004: 037D7D3F
	v_add_f32_e32 v190, v64, v190                              // 000000005008: 037D7D40
	v_add_f32_e32 v190, v65, v190                              // 00000000500C: 037D7D41
	v_add_f32_e32 v190, v66, v190                              // 000000005010: 037D7D42
	v_add_f32_e32 v190, v67, v190                              // 000000005014: 037D7D43
	v_add_f32_e32 v190, v68, v190                              // 000000005018: 037D7D44
	v_add_f32_e32 v190, v69, v190                              // 00000000501C: 037D7D45
	v_add_f32_e32 v190, v70, v190                              // 000000005020: 037D7D46
	v_add_f32_e32 v190, v71, v190                              // 000000005024: 037D7D47
	v_add_f32_e32 v190, v72, v190                              // 000000005028: 037D7D48
	v_add_f32_e32 v190, v73, v190                              // 00000000502C: 037D7D49
	v_add_f32_e32 v190, v74, v190                              // 000000005030: 037D7D4A
	v_add_f32_e32 v190, v75, v190                              // 000000005034: 037D7D4B
	v_add_f32_e32 v190, v76, v190                              // 000000005038: 037D7D4C
	v_add_f32_e32 v190, v77, v190                              // 00000000503C: 037D7D4D
	v_add_f32_e32 v190, v78, v190                              // 000000005040: 037D7D4E
	v_add_f32_e32 v190, v79, v190                              // 000000005044: 037D7D4F
	v_add_f32_e32 v190, v80, v190                              // 000000005048: 037D7D50
	v_add_f32_e32 v190, v81, v190                              // 00000000504C: 037D7D51
	v_add_f32_e32 v190, v82, v190                              // 000000005050: 037D7D52
	v_add_f32_e32 v190, v83, v190                              // 000000005054: 037D7D53
	v_add_f32_e32 v190, v84, v190                              // 000000005058: 037D7D54
	v_add_f32_e32 v190, v85, v190                              // 00000000505C: 037D7D55
	v_add_f32_e32 v190, v86, v190                              // 000000005060: 037D7D56
	v_add_f32_e32 v190, v87, v190                              // 000000005064: 037D7D57
	v_add_f32_e32 v190, v88, v190                              // 000000005068: 037D7D58
	v_add_f32_e32 v190, v89, v190                              // 00000000506C: 037D7D59
	v_add_f32_e32 v190, v90, v190                              // 000000005070: 037D7D5A
	v_add_f32_e32 v190, v91, v190                              // 000000005074: 037D7D5B
	v_add_f32_e32 v190, v92, v190                              // 000000005078: 037D7D5C
	v_add_f32_e32 v190, v93, v190                              // 00000000507C: 037D7D5D
	v_add_f32_e32 v190, v94, v190                              // 000000005080: 037D7D5E
	v_add_f32_e32 v190, v95, v190                              // 000000005084: 037D7D5F
	v_add_f32_e32 v190, v96, v190                              // 000000005088: 037D7D60
	v_add_f32_e32 v190, v97, v190                              // 00000000508C: 037D7D61
	v_add_f32_e32 v190, v98, v190                              // 000000005090: 037D7D62
	v_add_f32_e32 v190, v99, v190                              // 000000005094: 037D7D63
	v_add_f32_e32 v190, v100, v190                             // 000000005098: 037D7D64
	v_add_f32_e32 v190, v101, v190                             // 00000000509C: 037D7D65
	v_add_f32_e32 v190, v102, v190                             // 0000000050A0: 037D7D66
	v_add_f32_e32 v190, v103, v190                             // 0000000050A4: 037D7D67
	v_add_f32_e32 v190, v104, v190                             // 0000000050A8: 037D7D68
	v_add_f32_e32 v190, v105, v190                             // 0000000050AC: 037D7D69
	v_add_f32_e32 v190, v106, v190                             // 0000000050B0: 037D7D6A
	v_add_f32_e32 v190, v107, v190                             // 0000000050B4: 037D7D6B
	v_add_f32_e32 v190, v108, v190                             // 0000000050B8: 037D7D6C
	v_add_f32_e32 v190, v109, v190                             // 0000000050BC: 037D7D6D
	v_add_f32_e32 v190, v110, v190                             // 0000000050C0: 037D7D6E
	v_add_f32_e32 v190, v111, v190                             // 0000000050C4: 037D7D6F
	v_add_f32_e32 v190, v112, v190                             // 0000000050C8: 037D7D70
	v_add_f32_e32 v190, v113, v190                             // 0000000050CC: 037D7D71
	v_add_f32_e32 v190, v114, v190                             // 0000000050D0: 037D7D72
	v_add_f32_e32 v190, v115, v190                             // 0000000050D4: 037D7D73
	v_mul_f32_e32 v116, v188, v116                             // 0000000050D8: 0AE8E9BC
	v_mul_f32_e32 v117, v188, v117                             // 0000000050DC: 0AEAEBBC
	v_mul_f32_e32 v118, v188, v118                             // 0000000050E0: 0AECEDBC
	v_mul_f32_e32 v119, v188, v119                             // 0000000050E4: 0AEEEFBC
	v_mul_f32_e32 v120, v188, v120                             // 0000000050E8: 0AF0F1BC
	v_mul_f32_e32 v121, v188, v121                             // 0000000050EC: 0AF2F3BC
	v_mul_f32_e32 v122, v188, v122                             // 0000000050F0: 0AF4F5BC
	v_mul_f32_e32 v123, v188, v123                             // 0000000050F4: 0AF6F7BC
	v_mul_f32_e32 v124, v188, v124                             // 0000000050F8: 0AF8F9BC
	v_mul_f32_e32 v125, v188, v125                             // 0000000050FC: 0AFAFBBC
	v_mul_f32_e32 v126, v188, v126                             // 000000005100: 0AFCFDBC
	v_mul_f32_e32 v127, v188, v127                             // 000000005104: 0AFEFFBC
	v_mul_f32_e32 v128, v188, v128                             // 000000005108: 0B0101BC
	v_mul_f32_e32 v129, v188, v129                             // 00000000510C: 0B0303BC
	v_mul_f32_e32 v130, v188, v130                             // 000000005110: 0B0505BC
	v_mul_f32_e32 v131, v188, v131                             // 000000005114: 0B0707BC
	v_mul_f32_e32 v132, v188, v132                             // 000000005118: 0B0909BC
	v_mul_f32_e32 v133, v188, v133                             // 00000000511C: 0B0B0BBC
	v_mul_f32_e32 v134, v188, v134                             // 000000005120: 0B0D0DBC
	v_mul_f32_e32 v135, v188, v135                             // 000000005124: 0B0F0FBC
	v_mul_f32_e32 v136, v188, v136                             // 000000005128: 0B1111BC
	v_mul_f32_e32 v137, v188, v137                             // 00000000512C: 0B1313BC
	v_mul_f32_e32 v138, v188, v138                             // 000000005130: 0B1515BC
	v_mul_f32_e32 v139, v188, v139                             // 000000005134: 0B1717BC
	v_mul_f32_e32 v140, v188, v140                             // 000000005138: 0B1919BC
	v_mul_f32_e32 v141, v188, v141                             // 00000000513C: 0B1B1BBC
	v_mul_f32_e32 v142, v188, v142                             // 000000005140: 0B1D1DBC
	v_mul_f32_e32 v143, v188, v143                             // 000000005144: 0B1F1FBC
	v_mul_f32_e32 v144, v188, v144                             // 000000005148: 0B2121BC
	v_mul_f32_e32 v145, v188, v145                             // 00000000514C: 0B2323BC
	v_mul_f32_e32 v146, v188, v146                             // 000000005150: 0B2525BC
	v_mul_f32_e32 v147, v188, v147                             // 000000005154: 0B2727BC
	v_mul_f32_e32 v148, v188, v148                             // 000000005158: 0B2929BC
	v_mul_f32_e32 v149, v188, v149                             // 00000000515C: 0B2B2BBC
	v_mul_f32_e32 v150, v188, v150                             // 000000005160: 0B2D2DBC
	v_mul_f32_e32 v151, v188, v151                             // 000000005164: 0B2F2FBC
	v_mul_f32_e32 v152, v188, v152                             // 000000005168: 0B3131BC
	v_mul_f32_e32 v153, v188, v153                             // 00000000516C: 0B3333BC
	v_mul_f32_e32 v154, v188, v154                             // 000000005170: 0B3535BC
	v_mul_f32_e32 v155, v188, v155                             // 000000005174: 0B3737BC
	v_mul_f32_e32 v156, v188, v156                             // 000000005178: 0B3939BC
	v_mul_f32_e32 v157, v188, v157                             // 00000000517C: 0B3B3BBC
	v_mul_f32_e32 v158, v188, v158                             // 000000005180: 0B3D3DBC
	v_mul_f32_e32 v159, v188, v159                             // 000000005184: 0B3F3FBC
	v_mul_f32_e32 v160, v188, v160                             // 000000005188: 0B4141BC
	v_mul_f32_e32 v161, v188, v161                             // 00000000518C: 0B4343BC
	v_mul_f32_e32 v162, v188, v162                             // 000000005190: 0B4545BC
	v_mul_f32_e32 v163, v188, v163                             // 000000005194: 0B4747BC
	v_mul_f32_e32 v164, v188, v164                             // 000000005198: 0B4949BC
	v_mul_f32_e32 v165, v188, v165                             // 00000000519C: 0B4B4BBC
	v_mul_f32_e32 v166, v188, v166                             // 0000000051A0: 0B4D4DBC
	v_mul_f32_e32 v167, v188, v167                             // 0000000051A4: 0B4F4FBC
	v_mul_f32_e32 v168, v188, v168                             // 0000000051A8: 0B5151BC
	v_mul_f32_e32 v169, v188, v169                             // 0000000051AC: 0B5353BC
	v_mul_f32_e32 v170, v188, v170                             // 0000000051B0: 0B5555BC
	v_mul_f32_e32 v171, v188, v171                             // 0000000051B4: 0B5757BC
	v_mul_f32_e32 v172, v188, v172                             // 0000000051B8: 0B5959BC
	v_mul_f32_e32 v173, v188, v173                             // 0000000051BC: 0B5B5BBC
	v_mul_f32_e32 v174, v188, v174                             // 0000000051C0: 0B5D5DBC
	v_mul_f32_e32 v175, v188, v175                             // 0000000051C4: 0B5F5FBC
	v_mul_f32_e32 v176, v188, v176                             // 0000000051C8: 0B6161BC
	v_mul_f32_e32 v177, v188, v177                             // 0000000051CC: 0B6363BC
	v_mul_f32_e32 v178, v188, v178                             // 0000000051D0: 0B6565BC
	v_mul_f32_e32 v179, v188, v179                             // 0000000051D4: 0B6767BC
	v_mov_b32_e32 v189, v188                                   // 0000000051D8: 7F7A03BC
	s_barrier                                                  // 0000000051DC: BF8A0000
	v_cvt_pk_fp8_f32 v52, v52, v53                             // 0000000051E0: D2A20034 00026B34
	v_cvt_pk_fp8_f32 v52, v54, v55 op_sel:[0,0,1]              // 0000000051E8: D2A24034 00026F36
	v_cvt_pk_fp8_f32 v53, v56, v57                             // 0000000051F0: D2A20035 00027338
	v_cvt_pk_fp8_f32 v53, v58, v59 op_sel:[0,0,1]              // 0000000051F8: D2A24035 0002773A
	v_cvt_pk_fp8_f32 v54, v60, v61                             // 000000005200: D2A20036 00027B3C
	v_cvt_pk_fp8_f32 v54, v62, v63 op_sel:[0,0,1]              // 000000005208: D2A24036 00027F3E
	v_cvt_pk_fp8_f32 v55, v64, v65                             // 000000005210: D2A20037 00028340
	v_cvt_pk_fp8_f32 v55, v66, v67 op_sel:[0,0,1]              // 000000005218: D2A24037 00028742
	v_cvt_pk_fp8_f32 v56, v68, v69                             // 000000005220: D2A20038 00028B44
	v_cvt_pk_fp8_f32 v56, v70, v71 op_sel:[0,0,1]              // 000000005228: D2A24038 00028F46
	v_cvt_pk_fp8_f32 v57, v72, v73                             // 000000005230: D2A20039 00029348
	v_cvt_pk_fp8_f32 v57, v74, v75 op_sel:[0,0,1]              // 000000005238: D2A24039 0002974A
	v_cvt_pk_fp8_f32 v58, v76, v77                             // 000000005240: D2A2003A 00029B4C
	v_cvt_pk_fp8_f32 v58, v78, v79 op_sel:[0,0,1]              // 000000005248: D2A2403A 00029F4E
	v_cvt_pk_fp8_f32 v59, v80, v81                             // 000000005250: D2A2003B 0002A350
	v_cvt_pk_fp8_f32 v59, v82, v83 op_sel:[0,0,1]              // 000000005258: D2A2403B 0002A752
	v_cvt_pk_fp8_f32 v60, v84, v85                             // 000000005260: D2A2003C 0002AB54
	v_cvt_pk_fp8_f32 v60, v86, v87 op_sel:[0,0,1]              // 000000005268: D2A2403C 0002AF56
	v_cvt_pk_fp8_f32 v61, v88, v89                             // 000000005270: D2A2003D 0002B358
	v_cvt_pk_fp8_f32 v61, v90, v91 op_sel:[0,0,1]              // 000000005278: D2A2403D 0002B75A
	v_cvt_pk_fp8_f32 v62, v92, v93                             // 000000005280: D2A2003E 0002BB5C
	v_cvt_pk_fp8_f32 v62, v94, v95 op_sel:[0,0,1]              // 000000005288: D2A2403E 0002BF5E
	v_cvt_pk_fp8_f32 v63, v96, v97                             // 000000005290: D2A2003F 0002C360
	v_cvt_pk_fp8_f32 v63, v98, v99 op_sel:[0,0,1]              // 000000005298: D2A2403F 0002C762
	v_cvt_pk_fp8_f32 v64, v100, v101                           // 0000000052A0: D2A20040 0002CB64
	v_cvt_pk_fp8_f32 v64, v102, v103 op_sel:[0,0,1]            // 0000000052A8: D2A24040 0002CF66
	v_cvt_pk_fp8_f32 v65, v104, v105                           // 0000000052B0: D2A20041 0002D368
	v_cvt_pk_fp8_f32 v65, v106, v107 op_sel:[0,0,1]            // 0000000052B8: D2A24041 0002D76A
	v_cvt_pk_fp8_f32 v66, v108, v109                           // 0000000052C0: D2A20042 0002DB6C
	v_cvt_pk_fp8_f32 v66, v110, v111 op_sel:[0,0,1]            // 0000000052C8: D2A24042 0002DF6E
	v_cvt_pk_fp8_f32 v67, v112, v113                           // 0000000052D0: D2A20043 0002E370
	v_cvt_pk_fp8_f32 v67, v114, v115 op_sel:[0,0,1]            // 0000000052D8: D2A24043 0002E772
	s_barrier                                                  // 0000000052E0: BF8A0000
	s_waitcnt vmcnt(0)                                         // 0000000052E4: BF8C0F70
	s_waitcnt lgkmcnt(8)                                       // 0000000052E8: BF8CC87F
	s_setprio 1                                                // 0000000052EC: BF8F0001
	s_barrier                                                  // 0000000052F0: BF8A0000
	v_mfma_f32_32x32x64_f8f6f4 v[116:131], v[20:27], v[52:59], v[116:131]// 0000000052F4: D3AE0074 05D26914
	ds_read_b64_tr_b8 v[36:37], v219 offset:16672              // 0000000052FC: D9C44120 240000DB
	ds_read_b64_tr_b8 v[38:39], v219 offset:16928              // 000000005304: D9C44220 260000DB
	ds_read_b64_tr_b8 v[40:41], v219 offset:17184              // 00000000530C: D9C44320 280000DB
	ds_read_b64_tr_b8 v[42:43], v219 offset:17440              // 000000005314: D9C44420 2A0000DB
	s_waitcnt lgkmcnt(8)                                       // 00000000531C: BF8CC87F
	v_mfma_f32_32x32x64_f8f6f4 v[116:131], v[28:35], v[60:67], v[116:131]// 000000005320: D3AE0074 05D2791C
	ds_read_b64_tr_b8 v[44:45], v219 offset:24992              // 000000005328: D9C461A0 2C0000DB
	ds_read_b64_tr_b8 v[46:47], v219 offset:25248              // 000000005330: D9C462A0 2E0000DB
	ds_read_b64_tr_b8 v[48:49], v219 offset:25504              // 000000005338: D9C463A0 300000DB
	ds_read_b64_tr_b8 v[50:51], v219 offset:25760              // 000000005340: D9C464A0 320000DB
	s_waitcnt lgkmcnt(8)                                       // 000000005348: BF8CC87F
	v_mfma_f32_32x32x64_f8f6f4 v[132:147], v[36:43], v[52:59], v[132:147]// 00000000534C: D3AE0084 06126924
	ds_read_b64_tr_b8 v[20:21], v219 offset:16704              // 000000005354: D9C44140 140000DB
	ds_read_b64_tr_b8 v[22:23], v219 offset:16960              // 00000000535C: D9C44240 160000DB
	ds_read_b64_tr_b8 v[24:25], v219 offset:17216              // 000000005364: D9C44340 180000DB
	ds_read_b64_tr_b8 v[26:27], v219 offset:17472              // 00000000536C: D9C44440 1A0000DB
	s_waitcnt lgkmcnt(8)                                       // 000000005374: BF8CC87F
	v_mfma_f32_32x32x64_f8f6f4 v[132:147], v[44:51], v[60:67], v[132:147]// 000000005378: D3AE0084 0612792C
	ds_read_b64_tr_b8 v[28:29], v219 offset:25024              // 000000005380: D9C461C0 1C0000DB
	ds_read_b64_tr_b8 v[30:31], v219 offset:25280              // 000000005388: D9C462C0 1E0000DB
	ds_read_b64_tr_b8 v[32:33], v219 offset:25536              // 000000005390: D9C463C0 200000DB
	ds_read_b64_tr_b8 v[34:35], v219 offset:25792              // 000000005398: D9C464C0 220000DB
	s_waitcnt lgkmcnt(8)                                       // 0000000053A0: BF8CC87F
	v_mfma_f32_32x32x64_f8f6f4 v[148:163], v[20:27], v[52:59], v[148:163]// 0000000053A4: D3AE0094 06526914
	ds_read_b64_tr_b8 v[36:37], v219 offset:16736              // 0000000053AC: D9C44160 240000DB
	ds_read_b64_tr_b8 v[38:39], v219 offset:16992              // 0000000053B4: D9C44260 260000DB
	ds_read_b64_tr_b8 v[40:41], v219 offset:17248              // 0000000053BC: D9C44360 280000DB
	ds_read_b64_tr_b8 v[42:43], v219 offset:17504              // 0000000053C4: D9C44460 2A0000DB
	s_waitcnt lgkmcnt(8)                                       // 0000000053CC: BF8CC87F
	v_mfma_f32_32x32x64_f8f6f4 v[148:163], v[28:35], v[60:67], v[148:163]// 0000000053D0: D3AE0094 0652791C
	ds_read_b64_tr_b8 v[44:45], v219 offset:25056              // 0000000053D8: D9C461E0 2C0000DB
	ds_read_b64_tr_b8 v[46:47], v219 offset:25312              // 0000000053E0: D9C462E0 2E0000DB
	ds_read_b64_tr_b8 v[48:49], v219 offset:25568              // 0000000053E8: D9C463E0 300000DB
	ds_read_b64_tr_b8 v[50:51], v219 offset:25824              // 0000000053F0: D9C464E0 320000DB
	s_waitcnt lgkmcnt(8)                                       // 0000000053F8: BF8CC87F
	v_mfma_f32_32x32x64_f8f6f4 v[164:179], v[36:43], v[52:59], v[164:179]// 0000000053FC: D3AE00A4 06926924
	ds_read_b128 v[20:23], v218                                // 000000005404: D9FE0000 140000DA
	ds_read_b128 v[24:27], v218 offset:32                      // 00000000540C: D9FE0020 180000DA
	s_waitcnt lgkmcnt(6)                                       // 000000005414: BF8CC67F
	v_mfma_f32_32x32x64_f8f6f4 v[164:179], v[44:51], v[60:67], v[164:179]// 000000005418: D3AE00A4 0692792C
	ds_read_b128 v[28:31], v218 offset:4160                    // 000000005420: D9FE1040 1C0000DA
	ds_read_b128 v[32:35], v218 offset:4192                    // 000000005428: D9FE1060 200000DA
	s_addk_i32 s68, 0x80                                       // 000000005430: B7440080
	s_branch label_06BC                                        // 000000005434: BF82FB61

0000000000005438 <label_1938>:
	s_setprio 0                                                // 000000005438: BF8F0000
	s_lshl_b32 s66, s42, 2                                     // 00000000543C: 8E42822A
	v_add_u32_e32 v209, s66, v208                              // 000000005440: 69A3A042
	v_lshrrev_b32_e32 v181, 2, v209                            // 000000005444: 216BA282
	v_add_u32_e32 v184, 0x200, v209                            // 000000005448: 6971A2FF 00000200
	v_lshrrev_b32_e32 v182, 2, v184                            // 000000005450: 216D7082
	v_add_u32_e32 v209, 0x400, v209                            // 000000005454: 69A3A2FF 00000400
	v_mov_b32_e32 v203, v201                                   // 00000000545C: 7F9603C9
	v_mov_b32_e32 v204, v202                                   // 000000005460: 7F9803CA
	s_add_u32 m0, s70, 0                                       // 000000005464: 807C8046
	buffer_load_dwordx4 v203, s[8:11], 0 offen lds             // 000000005468: E05D1000 800200CB
	s_add_u32 m0, s70, 0x410                                   // 000000005470: 807CFF46 00000410
	buffer_load_dwordx4 v204, s[8:11], 0 offen lds             // 000000005478: E05D1000 800200CC
	s_add_u32 m0, s70, 0x1000                                  // 000000005480: 807CFF46 00001000
	buffer_load_dwordx4 v203, s[8:11], 0 offen offset:64 lds   // 000000005488: E05D1040 800200CB
	s_add_u32 m0, s70, 0x1410                                  // 000000005490: 807CFF46 00001410
	buffer_load_dwordx4 v204, s[8:11], 0 offen offset:64 lds   // 000000005498: E05D1040 800200CC
	v_mov_b32_e32 v194, s43                                    // 0000000054A0: 7F84022B
	s_and_b32 s69, s43, 0xffffff80                             // 0000000054A4: 8645FF2B FFFFFF80
	v_mov_b32_e32 v221, v220                                   // 0000000054AC: 7FBA03DC
	v_and_b32_e32 v184, 7, v0                                  // 0000000054B0: 27700087
	v_lshlrev_b32_e32 v213, 4, v184                            // 0000000054B4: 25AB7084
	s_waitcnt vmcnt(0)                                         // 0000000054B8: BF8C0F70
	v_mul_i32_i24_dpp v184, v181, v223 quad_perm:[0,0,0,0] row_mask:0xf bank_mask:0xf// 0000000054BC: 0D71BEFA FF0000B5
	v_mul_i32_i24_dpp v185, v181, v223 quad_perm:[1,1,1,1] row_mask:0xf bank_mask:0xf// 0000000054C4: 0D73BEFA FF0055B5
	v_mul_i32_i24_dpp v186, v181, v223 quad_perm:[2,2,2,2] row_mask:0xf bank_mask:0xf// 0000000054CC: 0D75BEFA FF00AAB5
	v_mul_i32_i24_dpp v187, v181, v223 quad_perm:[3,3,3,3] row_mask:0xf bank_mask:0xf// 0000000054D4: 0D77BEFA FF00FFB5
	v_add_u32_e32 v214, v213, v184                             // 0000000054DC: 69AD71D5
	v_add_u32_e32 v215, v213, v185                             // 0000000054E0: 69AF73D5
	v_add_u32_e32 v216, v213, v186                             // 0000000054E4: 69B175D5
	v_add_u32_e32 v217, v213, v187                             // 0000000054E8: 69B377D5
	s_add_u32 m0, s72, 0                                       // 0000000054EC: 807C8048
	buffer_load_dwordx4 v214, s[16:19], 0 offen lds            // 0000000054F0: E05D1000 800400D6
	s_add_u32 m0, s72, 0x410                                   // 0000000054F8: 807CFF48 00000410
	buffer_load_dwordx4 v215, s[16:19], 0 offen lds            // 000000005500: E05D1000 800400D7
	s_add_u32 m0, s72, 0x820                                   // 000000005508: 807CFF48 00000820
	buffer_load_dwordx4 v216, s[16:19], 0 offen lds            // 000000005510: E05D1000 800400D8
	s_add_u32 m0, s72, 0xc30                                   // 000000005518: 807CFF48 00000C30
	buffer_load_dwordx4 v217, s[16:19], 0 offen lds            // 000000005520: E05D1000 800400D9
	s_waitcnt vmcnt(4)                                         // 000000005528: BF8C0F74
	s_barrier                                                  // 00000000552C: BF8A0000
	ds_read_b128 v[4:7], v205                                  // 000000005530: D9FE0000 040000CD
	ds_read_b128 v[8:11], v205 offset:32                       // 000000005538: D9FE0020 080000CD
	ds_read_b128 v[12:15], v205 offset:4160                    // 000000005540: D9FE1040 0C0000CD
	ds_read_b128 v[16:19], v205 offset:4192                    // 000000005548: D9FE1060 100000CD
	s_barrier                                                  // 000000005550: BF8A0000
	s_waitcnt vmcnt(0)                                         // 000000005554: BF8C0F70
	s_barrier                                                  // 000000005558: BF8A0000
	s_barrier                                                  // 00000000555C: BF8A0000
	s_barrier                                                  // 000000005560: BF8A0000
	s_barrier                                                  // 000000005564: BF8A0000
	s_setprio 1                                                // 000000005568: BF8F0001
	ds_read_b128 v[20:23], v218                                // 00000000556C: D9FE0000 140000DA
	ds_read_b128 v[24:27], v218 offset:32                      // 000000005574: D9FE0020 180000DA
	ds_read_b128 v[28:31], v218 offset:4160                    // 00000000557C: D9FE1040 1C0000DA
	ds_read_b128 v[32:35], v218 offset:4192                    // 000000005584: D9FE1060 200000DA

000000000000558c <label_1A8C>:
	s_cmp_lt_i32 s68, s69                                      // 00000000558C: BF044544
	s_cbranch_scc0 label_48BC                                  // 000000005590: BF840B8A
	s_waitcnt lgkmcnt(2)                                       // 000000005594: BF8CC27F
	v_mfma_f32_32x32x64_f8f6f4 v[52:67], v[20:27], v[4:11], 0  // 000000005598: D3AE0034 02020914
	v_mul_i32_i24_dpp v184, v182, v223 quad_perm:[0,0,0,0] row_mask:0xf bank_mask:0xf// 0000000055A0: 0D71BEFA FF0000B6
	v_mul_i32_i24_dpp v185, v182, v223 quad_perm:[1,1,1,1] row_mask:0xf bank_mask:0xf// 0000000055A8: 0D73BEFA FF0055B6
	v_mul_i32_i24_dpp v186, v182, v223 quad_perm:[2,2,2,2] row_mask:0xf bank_mask:0xf// 0000000055B0: 0D75BEFA FF00AAB6
	v_mul_i32_i24_dpp v187, v182, v223 quad_perm:[3,3,3,3] row_mask:0xf bank_mask:0xf// 0000000055B8: 0D77BEFA FF00FFB6
	v_add_u32_e32 v214, v213, v184                             // 0000000055C0: 69AD71D5
	v_add_u32_e32 v215, v213, v185                             // 0000000055C4: 69AF73D5
	v_add_u32_e32 v216, v213, v186                             // 0000000055C8: 69B175D5
	v_add_u32_e32 v217, v213, v187                             // 0000000055CC: 69B377D5
	ds_read_b128 v[36:39], v218 offset:512                     // 0000000055D0: D9FE0200 240000DA
	ds_read_b128 v[40:43], v218 offset:544                     // 0000000055D8: D9FE0220 280000DA
	s_waitcnt lgkmcnt(2)                                       // 0000000055E0: BF8CC27F
	v_mfma_f32_32x32x64_f8f6f4 v[52:67], v[28:35], v[12:19], v[52:67]// 0000000055E4: D3AE0034 04D2191C
	s_add_u32 m0, s72, 0x4100                                  // 0000000055EC: 807CFF48 00004100
	buffer_load_dwordx4 v214, s[16:19], 0 offen lds            // 0000000055F4: E05D1000 800400D6
	ds_read_b128 v[44:47], v218 offset:4672                    // 0000000055FC: D9FE1240 2C0000DA
	ds_read_b128 v[48:51], v218 offset:4704                    // 000000005604: D9FE1260 300000DA
	s_waitcnt lgkmcnt(2)                                       // 00000000560C: BF8CC27F
	v_mfma_f32_32x32x64_f8f6f4 v[68:83], v[36:43], v[4:11], 0  // 000000005610: D3AE0044 02020924
	s_add_u32 m0, s72, 0x4510                                  // 000000005618: 807CFF48 00004510
	buffer_load_dwordx4 v215, s[16:19], 0 offen lds            // 000000005620: E05D1000 800400D7
	ds_read_b128 v[20:23], v218 offset:8320                    // 000000005628: D9FE2080 140000DA
	ds_read_b128 v[24:27], v218 offset:8352                    // 000000005630: D9FE20A0 180000DA
	s_waitcnt lgkmcnt(2)                                       // 000000005638: BF8CC27F
	v_mfma_f32_32x32x64_f8f6f4 v[68:83], v[44:51], v[12:19], v[68:83]// 00000000563C: D3AE0044 0512192C
	s_add_u32 m0, s72, 0x4920                                  // 000000005644: 807CFF48 00004920
	buffer_load_dwordx4 v216, s[16:19], 0 offen lds            // 00000000564C: E05D1000 800400D8
	ds_read_b128 v[28:31], v218 offset:12480                   // 000000005654: D9FE30C0 1C0000DA
	ds_read_b128 v[32:35], v218 offset:12512                   // 00000000565C: D9FE30E0 200000DA
	s_waitcnt lgkmcnt(2)                                       // 000000005664: BF8CC27F
	v_mfma_f32_32x32x64_f8f6f4 v[84:99], v[20:27], v[4:11], 0  // 000000005668: D3AE0054 02020914
	s_add_u32 m0, s72, 0x4d30                                  // 000000005670: 807CFF48 00004D30
	buffer_load_dwordx4 v217, s[16:19], 0 offen lds            // 000000005678: E05D1000 800400D9
	ds_read_b128 v[36:39], v218 offset:8832                    // 000000005680: D9FE2280 240000DA
	ds_read_b128 v[40:43], v218 offset:8864                    // 000000005688: D9FE22A0 280000DA
	s_waitcnt lgkmcnt(2)                                       // 000000005690: BF8CC27F
	v_mfma_f32_32x32x64_f8f6f4 v[84:99], v[28:35], v[12:19], v[84:99]// 000000005694: D3AE0054 0552191C
	v_lshrrev_b32_e32 v181, 2, v209                            // 00000000569C: 216BA282
	ds_read_b128 v[44:47], v218 offset:12992                   // 0000000056A0: D9FE32C0 2C0000DA
	ds_read_b128 v[48:51], v218 offset:13024                   // 0000000056A8: D9FE32E0 300000DA
	s_waitcnt lgkmcnt(2)                                       // 0000000056B0: BF8CC27F
	v_mfma_f32_32x32x64_f8f6f4 v[100:115], v[36:43], v[4:11], 0// 0000000056B4: D3AE0064 02020924
	v_add_u32_e32 v184, 0x200, v209                            // 0000000056BC: 6971A2FF 00000200
	v_lshrrev_b32_e32 v182, 2, v184                            // 0000000056C4: 216D7082
	v_add_u32_e32 v209, 0x400, v209                            // 0000000056C8: 69A3A2FF 00000400
	ds_read_b64_tr_b8 v[20:21], v219                           // 0000000056D0: D9C40000 140000DB
	ds_read_b64_tr_b8 v[22:23], v219 offset:256                // 0000000056D8: D9C40100 160000DB
	ds_read_b64_tr_b8 v[24:25], v219 offset:512                // 0000000056E0: D9C40200 180000DB
	ds_read_b64_tr_b8 v[26:27], v219 offset:768                // 0000000056E8: D9C40300 1A0000DB
	s_waitcnt lgkmcnt(4)                                       // 0000000056F0: BF8CC47F
	v_mfma_f32_32x32x64_f8f6f4 v[100:115], v[44:51], v[12:19], v[100:115]// 0000000056F4: D3AE0064 0592192C
	ds_read_b64_tr_b8 v[28:29], v219 offset:8320               // 0000000056FC: D9C42080 1C0000DB
	ds_read_b64_tr_b8 v[30:31], v219 offset:8576               // 000000005704: D9C42180 1E0000DB
	ds_read_b64_tr_b8 v[32:33], v219 offset:8832               // 00000000570C: D9C42280 200000DB
	ds_read_b64_tr_b8 v[34:35], v219 offset:9088               // 000000005714: D9C42380 220000DB
	s_nop 5                                                    // 00000000571C: BF800005
	s_barrier                                                  // 000000005720: BF8A0000
	s_setprio 0                                                // 000000005724: BF8F0000
	s_barrier                                                  // 000000005728: BF8A0000
	v_mov_b32_e32 v193, v192                                   // 00000000572C: 7F8203C0
	v_max3_f32 v193, v52, v53, v193                            // 000000005730: D1D300C1 07066B34
	v_max3_f32 v193, v54, v55, v193                            // 000000005738: D1D300C1 07066F36
	v_max3_f32 v193, v56, v57, v193                            // 000000005740: D1D300C1 07067338
	v_max3_f32 v193, v58, v59, v193                            // 000000005748: D1D300C1 0706773A
	v_max3_f32 v193, v60, v61, v193                            // 000000005750: D1D300C1 07067B3C
	v_max3_f32 v193, v62, v63, v193                            // 000000005758: D1D300C1 07067F3E
	v_max3_f32 v193, v64, v65, v193                            // 000000005760: D1D300C1 07068340
	v_max3_f32 v193, v66, v67, v193                            // 000000005768: D1D300C1 07068742
	v_max3_f32 v193, v68, v69, v193                            // 000000005770: D1D300C1 07068B44
	v_max3_f32 v193, v70, v71, v193                            // 000000005778: D1D300C1 07068F46
	v_max3_f32 v193, v72, v73, v193                            // 000000005780: D1D300C1 07069348
	v_max3_f32 v193, v74, v75, v193                            // 000000005788: D1D300C1 0706974A
	v_max3_f32 v193, v76, v77, v193                            // 000000005790: D1D300C1 07069B4C
	v_max3_f32 v193, v78, v79, v193                            // 000000005798: D1D300C1 07069F4E
	v_max3_f32 v193, v80, v81, v193                            // 0000000057A0: D1D300C1 0706A350
	v_max3_f32 v193, v82, v83, v193                            // 0000000057A8: D1D300C1 0706A752
	v_max3_f32 v193, v84, v85, v193                            // 0000000057B0: D1D300C1 0706AB54
	v_max3_f32 v193, v86, v87, v193                            // 0000000057B8: D1D300C1 0706AF56
	v_max3_f32 v193, v88, v89, v193                            // 0000000057C0: D1D300C1 0706B358
	v_max3_f32 v193, v90, v91, v193                            // 0000000057C8: D1D300C1 0706B75A
	v_max3_f32 v193, v92, v93, v193                            // 0000000057D0: D1D300C1 0706BB5C
	v_max3_f32 v193, v94, v95, v193                            // 0000000057D8: D1D300C1 0706BF5E
	v_max3_f32 v193, v96, v97, v193                            // 0000000057E0: D1D300C1 0706C360
	v_max3_f32 v193, v98, v99, v193                            // 0000000057E8: D1D300C1 0706C762
	v_max3_f32 v193, v100, v101, v193                          // 0000000057F0: D1D300C1 0706CB64
	v_max3_f32 v193, v102, v103, v193                          // 0000000057F8: D1D300C1 0706CF66
	v_max3_f32 v193, v104, v105, v193                          // 000000005800: D1D300C1 0706D368
	v_max3_f32 v193, v106, v107, v193                          // 000000005808: D1D300C1 0706D76A
	v_max3_f32 v193, v108, v109, v193                          // 000000005810: D1D300C1 0706DB6C
	v_max3_f32 v193, v110, v111, v193                          // 000000005818: D1D300C1 0706DF6E
	v_max3_f32 v193, v112, v113, v193                          // 000000005820: D1D300C1 0706E370
	v_max3_f32 v193, v114, v115, v193                          // 000000005828: D1D300C1 0706E772
	v_mov_b32_e32 v184, v193                                   // 000000005830: 7F7003C1
	s_nop 1                                                    // 000000005834: BF800001
	s_nop 0                                                    // 000000005838: BF800000
	v_permlane32_swap_b32_e32 v184, v193                       // 00000000583C: 7F70B5C1
	v_max_f32_e32 v193, v193, v184                             // 000000005840: 178371C1
	v_cmp_eq_u32_e64 s[66:67], v197, v193                      // 000000005844: D0CA0042 000383C5
	s_nop 0                                                    // 00000000584C: BF800000
	v_cndmask_b32_e64 v193, v193, 0, s[66:67]                  // 000000005850: D10000C1 010901C1
	v_mul_f32_e64 v184, -s26, v193                             // 000000005858: D10500B8 2003821A
	v_mov_b32_e32 v185, v184                                   // 000000005860: 7F7203B8
	v_pk_fma_f32 v[52:53], v[52:53], s[26:27], v[184:185]      // 000000005864: D3B04034 1EE03534
	v_pk_fma_f32 v[54:55], v[54:55], s[26:27], v[184:185]      // 00000000586C: D3B04036 1EE03536
	v_pk_fma_f32 v[56:57], v[56:57], s[26:27], v[184:185]      // 000000005874: D3B04038 1EE03538
	v_pk_fma_f32 v[58:59], v[58:59], s[26:27], v[184:185]      // 00000000587C: D3B0403A 1EE0353A
	v_pk_fma_f32 v[60:61], v[60:61], s[26:27], v[184:185]      // 000000005884: D3B0403C 1EE0353C
	v_pk_fma_f32 v[62:63], v[62:63], s[26:27], v[184:185]      // 00000000588C: D3B0403E 1EE0353E
	v_pk_fma_f32 v[64:65], v[64:65], s[26:27], v[184:185]      // 000000005894: D3B04040 1EE03540
	v_pk_fma_f32 v[66:67], v[66:67], s[26:27], v[184:185]      // 00000000589C: D3B04042 1EE03542
	v_pk_fma_f32 v[68:69], v[68:69], s[26:27], v[184:185]      // 0000000058A4: D3B04044 1EE03544
	v_pk_fma_f32 v[70:71], v[70:71], s[26:27], v[184:185]      // 0000000058AC: D3B04046 1EE03546
	v_pk_fma_f32 v[72:73], v[72:73], s[26:27], v[184:185]      // 0000000058B4: D3B04048 1EE03548
	v_pk_fma_f32 v[74:75], v[74:75], s[26:27], v[184:185]      // 0000000058BC: D3B0404A 1EE0354A
	v_pk_fma_f32 v[76:77], v[76:77], s[26:27], v[184:185]      // 0000000058C4: D3B0404C 1EE0354C
	v_pk_fma_f32 v[78:79], v[78:79], s[26:27], v[184:185]      // 0000000058CC: D3B0404E 1EE0354E
	v_pk_fma_f32 v[80:81], v[80:81], s[26:27], v[184:185]      // 0000000058D4: D3B04050 1EE03550
	v_pk_fma_f32 v[82:83], v[82:83], s[26:27], v[184:185]      // 0000000058DC: D3B04052 1EE03552
	v_pk_fma_f32 v[84:85], v[84:85], s[26:27], v[184:185]      // 0000000058E4: D3B04054 1EE03554
	v_pk_fma_f32 v[86:87], v[86:87], s[26:27], v[184:185]      // 0000000058EC: D3B04056 1EE03556
	v_pk_fma_f32 v[88:89], v[88:89], s[26:27], v[184:185]      // 0000000058F4: D3B04058 1EE03558
	v_pk_fma_f32 v[90:91], v[90:91], s[26:27], v[184:185]      // 0000000058FC: D3B0405A 1EE0355A
	v_pk_fma_f32 v[92:93], v[92:93], s[26:27], v[184:185]      // 000000005904: D3B0405C 1EE0355C
	v_pk_fma_f32 v[94:95], v[94:95], s[26:27], v[184:185]      // 00000000590C: D3B0405E 1EE0355E
	v_pk_fma_f32 v[96:97], v[96:97], s[26:27], v[184:185]      // 000000005914: D3B04060 1EE03560
	v_pk_fma_f32 v[98:99], v[98:99], s[26:27], v[184:185]      // 00000000591C: D3B04062 1EE03562
	v_pk_fma_f32 v[100:101], v[100:101], s[26:27], v[184:185]  // 000000005924: D3B04064 1EE03564
	v_pk_fma_f32 v[102:103], v[102:103], s[26:27], v[184:185]  // 00000000592C: D3B04066 1EE03566
	v_pk_fma_f32 v[104:105], v[104:105], s[26:27], v[184:185]  // 000000005934: D3B04068 1EE03568
	v_pk_fma_f32 v[106:107], v[106:107], s[26:27], v[184:185]  // 00000000593C: D3B0406A 1EE0356A
	v_pk_fma_f32 v[108:109], v[108:109], s[26:27], v[184:185]  // 000000005944: D3B0406C 1EE0356C
	v_pk_fma_f32 v[110:111], v[110:111], s[26:27], v[184:185]  // 00000000594C: D3B0406E 1EE0356E
	v_pk_fma_f32 v[112:113], v[112:113], s[26:27], v[184:185]  // 000000005954: D3B04070 1EE03570
	v_pk_fma_f32 v[114:115], v[114:115], s[26:27], v[184:185]  // 00000000595C: D3B04072 1EE03572
	s_barrier                                                  // 000000005964: BF8A0000
	v_exp_f32_e32 v52, v52                                     // 000000005968: 7E684134
	v_exp_f32_e32 v53, v53                                     // 00000000596C: 7E6A4135
	v_exp_f32_e32 v54, v54                                     // 000000005970: 7E6C4136
	v_exp_f32_e32 v55, v55                                     // 000000005974: 7E6E4137
	v_exp_f32_e32 v56, v56                                     // 000000005978: 7E704138
	v_exp_f32_e32 v57, v57                                     // 00000000597C: 7E724139
	v_exp_f32_e32 v58, v58                                     // 000000005980: 7E74413A
	v_exp_f32_e32 v59, v59                                     // 000000005984: 7E76413B
	v_exp_f32_e32 v60, v60                                     // 000000005988: 7E78413C
	v_exp_f32_e32 v61, v61                                     // 00000000598C: 7E7A413D
	v_exp_f32_e32 v62, v62                                     // 000000005990: 7E7C413E
	v_exp_f32_e32 v63, v63                                     // 000000005994: 7E7E413F
	v_exp_f32_e32 v64, v64                                     // 000000005998: 7E804140
	v_exp_f32_e32 v65, v65                                     // 00000000599C: 7E824141
	v_exp_f32_e32 v66, v66                                     // 0000000059A0: 7E844142
	v_exp_f32_e32 v67, v67                                     // 0000000059A4: 7E864143
	v_exp_f32_e32 v68, v68                                     // 0000000059A8: 7E884144
	v_exp_f32_e32 v69, v69                                     // 0000000059AC: 7E8A4145
	v_exp_f32_e32 v70, v70                                     // 0000000059B0: 7E8C4146
	v_exp_f32_e32 v71, v71                                     // 0000000059B4: 7E8E4147
	v_exp_f32_e32 v72, v72                                     // 0000000059B8: 7E904148
	v_exp_f32_e32 v73, v73                                     // 0000000059BC: 7E924149
	v_exp_f32_e32 v74, v74                                     // 0000000059C0: 7E94414A
	v_exp_f32_e32 v75, v75                                     // 0000000059C4: 7E96414B
	v_exp_f32_e32 v76, v76                                     // 0000000059C8: 7E98414C
	v_exp_f32_e32 v77, v77                                     // 0000000059CC: 7E9A414D
	v_exp_f32_e32 v78, v78                                     // 0000000059D0: 7E9C414E
	v_exp_f32_e32 v79, v79                                     // 0000000059D4: 7E9E414F
	v_exp_f32_e32 v80, v80                                     // 0000000059D8: 7EA04150
	v_exp_f32_e32 v81, v81                                     // 0000000059DC: 7EA24151
	v_exp_f32_e32 v82, v82                                     // 0000000059E0: 7EA44152
	v_exp_f32_e32 v83, v83                                     // 0000000059E4: 7EA64153
	v_exp_f32_e32 v84, v84                                     // 0000000059E8: 7EA84154
	v_exp_f32_e32 v85, v85                                     // 0000000059EC: 7EAA4155
	v_exp_f32_e32 v86, v86                                     // 0000000059F0: 7EAC4156
	v_exp_f32_e32 v87, v87                                     // 0000000059F4: 7EAE4157
	v_exp_f32_e32 v88, v88                                     // 0000000059F8: 7EB04158
	v_exp_f32_e32 v89, v89                                     // 0000000059FC: 7EB24159
	v_exp_f32_e32 v90, v90                                     // 000000005A00: 7EB4415A
	v_exp_f32_e32 v91, v91                                     // 000000005A04: 7EB6415B
	v_exp_f32_e32 v92, v92                                     // 000000005A08: 7EB8415C
	v_exp_f32_e32 v93, v93                                     // 000000005A0C: 7EBA415D
	v_exp_f32_e32 v94, v94                                     // 000000005A10: 7EBC415E
	v_exp_f32_e32 v95, v95                                     // 000000005A14: 7EBE415F
	v_exp_f32_e32 v96, v96                                     // 000000005A18: 7EC04160
	v_exp_f32_e32 v97, v97                                     // 000000005A1C: 7EC24161
	v_exp_f32_e32 v98, v98                                     // 000000005A20: 7EC44162
	v_exp_f32_e32 v99, v99                                     // 000000005A24: 7EC64163
	v_exp_f32_e32 v100, v100                                   // 000000005A28: 7EC84164
	v_exp_f32_e32 v101, v101                                   // 000000005A2C: 7ECA4165
	v_exp_f32_e32 v102, v102                                   // 000000005A30: 7ECC4166
	v_exp_f32_e32 v103, v103                                   // 000000005A34: 7ECE4167
	v_exp_f32_e32 v104, v104                                   // 000000005A38: 7ED04168
	v_exp_f32_e32 v105, v105                                   // 000000005A3C: 7ED24169
	v_exp_f32_e32 v106, v106                                   // 000000005A40: 7ED4416A
	v_exp_f32_e32 v107, v107                                   // 000000005A44: 7ED6416B
	v_exp_f32_e32 v108, v108                                   // 000000005A48: 7ED8416C
	v_exp_f32_e32 v109, v109                                   // 000000005A4C: 7EDA416D
	v_exp_f32_e32 v110, v110                                   // 000000005A50: 7EDC416E
	v_exp_f32_e32 v111, v111                                   // 000000005A54: 7EDE416F
	v_exp_f32_e32 v112, v112                                   // 000000005A58: 7EE04170
	v_exp_f32_e32 v113, v113                                   // 000000005A5C: 7EE24171
	v_exp_f32_e32 v114, v114                                   // 000000005A60: 7EE44172
	v_exp_f32_e32 v115, v115                                   // 000000005A64: 7EE64173
	v_sub_f32_e32 v188, v192, v193                             // 000000005A68: 057983C0
	v_cmp_eq_u32_e64 s[66:67], v197, v192                      // 000000005A6C: D0CA0042 000381C5
	s_nop 0                                                    // 000000005A74: BF800000
	v_cndmask_b32_e64 v188, v188, 0, s[66:67]                  // 000000005A78: D10000BC 010901BC
	v_mov_b32_e32 v192, v193                                   // 000000005A80: 7F8003C1
	v_mul_f32_e32 v188, s26, v188                              // 000000005A84: 0B79781A
	v_exp_f32_e32 v188, v188                                   // 000000005A88: 7F7841BC
	s_nop 0                                                    // 000000005A8C: BF800000
	v_mul_f32_e32 v190, v188, v190                             // 000000005A90: 0B7D7DBC
	v_add_f32_e32 v190, v52, v190                              // 000000005A94: 037D7D34
	v_add_f32_e32 v190, v53, v190                              // 000000005A98: 037D7D35
	v_add_f32_e32 v190, v54, v190                              // 000000005A9C: 037D7D36
	v_add_f32_e32 v190, v55, v190                              // 000000005AA0: 037D7D37
	v_add_f32_e32 v190, v56, v190                              // 000000005AA4: 037D7D38
	v_add_f32_e32 v190, v57, v190                              // 000000005AA8: 037D7D39
	v_add_f32_e32 v190, v58, v190                              // 000000005AAC: 037D7D3A
	v_add_f32_e32 v190, v59, v190                              // 000000005AB0: 037D7D3B
	v_add_f32_e32 v190, v60, v190                              // 000000005AB4: 037D7D3C
	v_add_f32_e32 v190, v61, v190                              // 000000005AB8: 037D7D3D
	v_add_f32_e32 v190, v62, v190                              // 000000005ABC: 037D7D3E
	v_add_f32_e32 v190, v63, v190                              // 000000005AC0: 037D7D3F
	v_add_f32_e32 v190, v64, v190                              // 000000005AC4: 037D7D40
	v_add_f32_e32 v190, v65, v190                              // 000000005AC8: 037D7D41
	v_add_f32_e32 v190, v66, v190                              // 000000005ACC: 037D7D42
	v_add_f32_e32 v190, v67, v190                              // 000000005AD0: 037D7D43
	v_add_f32_e32 v190, v68, v190                              // 000000005AD4: 037D7D44
	v_add_f32_e32 v190, v69, v190                              // 000000005AD8: 037D7D45
	v_add_f32_e32 v190, v70, v190                              // 000000005ADC: 037D7D46
	v_add_f32_e32 v190, v71, v190                              // 000000005AE0: 037D7D47
	v_add_f32_e32 v190, v72, v190                              // 000000005AE4: 037D7D48
	v_add_f32_e32 v190, v73, v190                              // 000000005AE8: 037D7D49
	v_add_f32_e32 v190, v74, v190                              // 000000005AEC: 037D7D4A
	v_add_f32_e32 v190, v75, v190                              // 000000005AF0: 037D7D4B
	v_add_f32_e32 v190, v76, v190                              // 000000005AF4: 037D7D4C
	v_add_f32_e32 v190, v77, v190                              // 000000005AF8: 037D7D4D
	v_add_f32_e32 v190, v78, v190                              // 000000005AFC: 037D7D4E
	v_add_f32_e32 v190, v79, v190                              // 000000005B00: 037D7D4F
	v_add_f32_e32 v190, v80, v190                              // 000000005B04: 037D7D50
	v_add_f32_e32 v190, v81, v190                              // 000000005B08: 037D7D51
	v_add_f32_e32 v190, v82, v190                              // 000000005B0C: 037D7D52
	v_add_f32_e32 v190, v83, v190                              // 000000005B10: 037D7D53
	v_add_f32_e32 v190, v84, v190                              // 000000005B14: 037D7D54
	v_add_f32_e32 v190, v85, v190                              // 000000005B18: 037D7D55
	v_add_f32_e32 v190, v86, v190                              // 000000005B1C: 037D7D56
	v_add_f32_e32 v190, v87, v190                              // 000000005B20: 037D7D57
	v_add_f32_e32 v190, v88, v190                              // 000000005B24: 037D7D58
	v_add_f32_e32 v190, v89, v190                              // 000000005B28: 037D7D59
	v_add_f32_e32 v190, v90, v190                              // 000000005B2C: 037D7D5A
	v_add_f32_e32 v190, v91, v190                              // 000000005B30: 037D7D5B
	v_add_f32_e32 v190, v92, v190                              // 000000005B34: 037D7D5C
	v_add_f32_e32 v190, v93, v190                              // 000000005B38: 037D7D5D
	v_add_f32_e32 v190, v94, v190                              // 000000005B3C: 037D7D5E
	v_add_f32_e32 v190, v95, v190                              // 000000005B40: 037D7D5F
	v_add_f32_e32 v190, v96, v190                              // 000000005B44: 037D7D60
	v_add_f32_e32 v190, v97, v190                              // 000000005B48: 037D7D61
	v_add_f32_e32 v190, v98, v190                              // 000000005B4C: 037D7D62
	v_add_f32_e32 v190, v99, v190                              // 000000005B50: 037D7D63
	v_add_f32_e32 v190, v100, v190                             // 000000005B54: 037D7D64
	v_add_f32_e32 v190, v101, v190                             // 000000005B58: 037D7D65
	v_add_f32_e32 v190, v102, v190                             // 000000005B5C: 037D7D66
	v_add_f32_e32 v190, v103, v190                             // 000000005B60: 037D7D67
	v_add_f32_e32 v190, v104, v190                             // 000000005B64: 037D7D68
	v_add_f32_e32 v190, v105, v190                             // 000000005B68: 037D7D69
	v_add_f32_e32 v190, v106, v190                             // 000000005B6C: 037D7D6A
	v_add_f32_e32 v190, v107, v190                             // 000000005B70: 037D7D6B
	v_add_f32_e32 v190, v108, v190                             // 000000005B74: 037D7D6C
	v_add_f32_e32 v190, v109, v190                             // 000000005B78: 037D7D6D
	v_add_f32_e32 v190, v110, v190                             // 000000005B7C: 037D7D6E
	v_add_f32_e32 v190, v111, v190                             // 000000005B80: 037D7D6F
	v_add_f32_e32 v190, v112, v190                             // 000000005B84: 037D7D70
	v_add_f32_e32 v190, v113, v190                             // 000000005B88: 037D7D71
	v_add_f32_e32 v190, v114, v190                             // 000000005B8C: 037D7D72
	v_add_f32_e32 v190, v115, v190                             // 000000005B90: 037D7D73
	v_mul_f32_e32 v116, v188, v116                             // 000000005B94: 0AE8E9BC
	v_mul_f32_e32 v117, v188, v117                             // 000000005B98: 0AEAEBBC
	v_mul_f32_e32 v118, v188, v118                             // 000000005B9C: 0AECEDBC
	v_mul_f32_e32 v119, v188, v119                             // 000000005BA0: 0AEEEFBC
	v_mul_f32_e32 v120, v188, v120                             // 000000005BA4: 0AF0F1BC
	v_mul_f32_e32 v121, v188, v121                             // 000000005BA8: 0AF2F3BC
	v_mul_f32_e32 v122, v188, v122                             // 000000005BAC: 0AF4F5BC
	v_mul_f32_e32 v123, v188, v123                             // 000000005BB0: 0AF6F7BC
	v_mul_f32_e32 v124, v188, v124                             // 000000005BB4: 0AF8F9BC
	v_mul_f32_e32 v125, v188, v125                             // 000000005BB8: 0AFAFBBC
	v_mul_f32_e32 v126, v188, v126                             // 000000005BBC: 0AFCFDBC
	v_mul_f32_e32 v127, v188, v127                             // 000000005BC0: 0AFEFFBC
	v_mul_f32_e32 v128, v188, v128                             // 000000005BC4: 0B0101BC
	v_mul_f32_e32 v129, v188, v129                             // 000000005BC8: 0B0303BC
	v_mul_f32_e32 v130, v188, v130                             // 000000005BCC: 0B0505BC
	v_mul_f32_e32 v131, v188, v131                             // 000000005BD0: 0B0707BC
	v_mul_f32_e32 v132, v188, v132                             // 000000005BD4: 0B0909BC
	v_mul_f32_e32 v133, v188, v133                             // 000000005BD8: 0B0B0BBC
	v_mul_f32_e32 v134, v188, v134                             // 000000005BDC: 0B0D0DBC
	v_mul_f32_e32 v135, v188, v135                             // 000000005BE0: 0B0F0FBC
	v_mul_f32_e32 v136, v188, v136                             // 000000005BE4: 0B1111BC
	v_mul_f32_e32 v137, v188, v137                             // 000000005BE8: 0B1313BC
	v_mul_f32_e32 v138, v188, v138                             // 000000005BEC: 0B1515BC
	v_mul_f32_e32 v139, v188, v139                             // 000000005BF0: 0B1717BC
	v_mul_f32_e32 v140, v188, v140                             // 000000005BF4: 0B1919BC
	s_waitcnt vmcnt(0)                                         // 000000005BF8: BF8C0F70
	s_barrier                                                  // 000000005BFC: BF8A0000
	v_mul_f32_e32 v141, v188, v141                             // 000000005C00: 0B1B1BBC
	v_mul_f32_e32 v142, v188, v142                             // 000000005C04: 0B1D1DBC
	v_mul_f32_e32 v143, v188, v143                             // 000000005C08: 0B1F1FBC
	v_mul_f32_e32 v144, v188, v144                             // 000000005C0C: 0B2121BC
	v_mul_f32_e32 v145, v188, v145                             // 000000005C10: 0B2323BC
	v_mul_f32_e32 v146, v188, v146                             // 000000005C14: 0B2525BC
	v_mul_f32_e32 v147, v188, v147                             // 000000005C18: 0B2727BC
	v_mul_f32_e32 v148, v188, v148                             // 000000005C1C: 0B2929BC
	v_mul_f32_e32 v149, v188, v149                             // 000000005C20: 0B2B2BBC
	v_mul_f32_e32 v150, v188, v150                             // 000000005C24: 0B2D2DBC
	v_mul_f32_e32 v151, v188, v151                             // 000000005C28: 0B2F2FBC
	v_mul_f32_e32 v152, v188, v152                             // 000000005C2C: 0B3131BC
	v_mul_f32_e32 v153, v188, v153                             // 000000005C30: 0B3333BC
	v_mul_f32_e32 v154, v188, v154                             // 000000005C34: 0B3535BC
	v_mul_f32_e32 v155, v188, v155                             // 000000005C38: 0B3737BC
	v_mul_f32_e32 v156, v188, v156                             // 000000005C3C: 0B3939BC
	v_mul_f32_e32 v157, v188, v157                             // 000000005C40: 0B3B3BBC
	v_mul_f32_e32 v158, v188, v158                             // 000000005C44: 0B3D3DBC
	v_mul_f32_e32 v159, v188, v159                             // 000000005C48: 0B3F3FBC
	v_mul_f32_e32 v160, v188, v160                             // 000000005C4C: 0B4141BC
	v_mul_f32_e32 v161, v188, v161                             // 000000005C50: 0B4343BC
	v_mul_f32_e32 v162, v188, v162                             // 000000005C54: 0B4545BC
	v_mul_f32_e32 v163, v188, v163                             // 000000005C58: 0B4747BC
	v_mul_f32_e32 v164, v188, v164                             // 000000005C5C: 0B4949BC
	v_mul_f32_e32 v165, v188, v165                             // 000000005C60: 0B4B4BBC
	v_mul_f32_e32 v166, v188, v166                             // 000000005C64: 0B4D4DBC
	v_mul_f32_e32 v167, v188, v167                             // 000000005C68: 0B4F4FBC
	v_mul_f32_e32 v168, v188, v168                             // 000000005C6C: 0B5151BC
	v_mul_f32_e32 v169, v188, v169                             // 000000005C70: 0B5353BC
	v_mul_f32_e32 v170, v188, v170                             // 000000005C74: 0B5555BC
	v_mul_f32_e32 v171, v188, v171                             // 000000005C78: 0B5757BC
	v_mul_f32_e32 v172, v188, v172                             // 000000005C7C: 0B5959BC
	v_mul_f32_e32 v173, v188, v173                             // 000000005C80: 0B5B5BBC
	v_mul_f32_e32 v174, v188, v174                             // 000000005C84: 0B5D5DBC
	v_mul_f32_e32 v175, v188, v175                             // 000000005C88: 0B5F5FBC
	v_mul_f32_e32 v176, v188, v176                             // 000000005C8C: 0B6161BC
	v_mul_f32_e32 v177, v188, v177                             // 000000005C90: 0B6363BC
	v_mul_f32_e32 v178, v188, v178                             // 000000005C94: 0B6565BC
	v_mul_f32_e32 v179, v188, v179                             // 000000005C98: 0B6767BC
	s_barrier                                                  // 000000005C9C: BF8A0000
	v_cvt_pk_fp8_f32 v52, v52, v53                             // 000000005CA0: D2A20034 00026B34
	v_cvt_pk_fp8_f32 v52, v54, v55 op_sel:[0,0,1]              // 000000005CA8: D2A24034 00026F36
	v_cvt_pk_fp8_f32 v53, v56, v57                             // 000000005CB0: D2A20035 00027338
	v_cvt_pk_fp8_f32 v53, v58, v59 op_sel:[0,0,1]              // 000000005CB8: D2A24035 0002773A
	v_cvt_pk_fp8_f32 v54, v60, v61                             // 000000005CC0: D2A20036 00027B3C
	v_cvt_pk_fp8_f32 v54, v62, v63 op_sel:[0,0,1]              // 000000005CC8: D2A24036 00027F3E
	v_cvt_pk_fp8_f32 v55, v64, v65                             // 000000005CD0: D2A20037 00028340
	v_cvt_pk_fp8_f32 v55, v66, v67 op_sel:[0,0,1]              // 000000005CD8: D2A24037 00028742
	v_cvt_pk_fp8_f32 v56, v68, v69                             // 000000005CE0: D2A20038 00028B44
	v_cvt_pk_fp8_f32 v56, v70, v71 op_sel:[0,0,1]              // 000000005CE8: D2A24038 00028F46
	v_cvt_pk_fp8_f32 v57, v72, v73                             // 000000005CF0: D2A20039 00029348
	v_cvt_pk_fp8_f32 v57, v74, v75 op_sel:[0,0,1]              // 000000005CF8: D2A24039 0002974A
	v_cvt_pk_fp8_f32 v58, v76, v77                             // 000000005D00: D2A2003A 00029B4C
	v_cvt_pk_fp8_f32 v58, v78, v79 op_sel:[0,0,1]              // 000000005D08: D2A2403A 00029F4E
	v_cvt_pk_fp8_f32 v59, v80, v81                             // 000000005D10: D2A2003B 0002A350
	v_cvt_pk_fp8_f32 v59, v82, v83 op_sel:[0,0,1]              // 000000005D18: D2A2403B 0002A752
	v_cvt_pk_fp8_f32 v60, v84, v85                             // 000000005D20: D2A2003C 0002AB54
	v_cvt_pk_fp8_f32 v60, v86, v87 op_sel:[0,0,1]              // 000000005D28: D2A2403C 0002AF56
	v_cvt_pk_fp8_f32 v61, v88, v89                             // 000000005D30: D2A2003D 0002B358
	v_cvt_pk_fp8_f32 v61, v90, v91 op_sel:[0,0,1]              // 000000005D38: D2A2403D 0002B75A
	v_cvt_pk_fp8_f32 v62, v92, v93                             // 000000005D40: D2A2003E 0002BB5C
	v_cvt_pk_fp8_f32 v62, v94, v95 op_sel:[0,0,1]              // 000000005D48: D2A2403E 0002BF5E
	v_cvt_pk_fp8_f32 v63, v96, v97                             // 000000005D50: D2A2003F 0002C360
	v_cvt_pk_fp8_f32 v63, v98, v99 op_sel:[0,0,1]              // 000000005D58: D2A2403F 0002C762
	v_cvt_pk_fp8_f32 v64, v100, v101                           // 000000005D60: D2A20040 0002CB64
	v_cvt_pk_fp8_f32 v64, v102, v103 op_sel:[0,0,1]            // 000000005D68: D2A24040 0002CF66
	v_cvt_pk_fp8_f32 v65, v104, v105                           // 000000005D70: D2A20041 0002D368
	v_cvt_pk_fp8_f32 v65, v106, v107 op_sel:[0,0,1]            // 000000005D78: D2A24041 0002D76A
	v_cvt_pk_fp8_f32 v66, v108, v109                           // 000000005D80: D2A20042 0002DB6C
	v_cvt_pk_fp8_f32 v66, v110, v111 op_sel:[0,0,1]            // 000000005D88: D2A24042 0002DF6E
	v_cvt_pk_fp8_f32 v67, v112, v113                           // 000000005D90: D2A20043 0002E370
	v_cvt_pk_fp8_f32 v67, v114, v115 op_sel:[0,0,1]            // 000000005D98: D2A24043 0002E772
	s_barrier                                                  // 000000005DA0: BF8A0000
	s_waitcnt lgkmcnt(8)                                       // 000000005DA4: BF8CC87F
	s_setprio 1                                                // 000000005DA8: BF8F0001
	s_barrier                                                  // 000000005DAC: BF8A0000
	v_mfma_f32_32x32x64_f8f6f4 v[116:131], v[20:27], v[52:59], v[116:131]// 000000005DB0: D3AE0074 05D26914
	ds_read_b64_tr_b8 v[36:37], v219 offset:32                 // 000000005DB8: D9C40020 240000DB
	ds_read_b64_tr_b8 v[38:39], v219 offset:288                // 000000005DC0: D9C40120 260000DB
	ds_read_b64_tr_b8 v[40:41], v219 offset:544                // 000000005DC8: D9C40220 280000DB
	ds_read_b64_tr_b8 v[42:43], v219 offset:800                // 000000005DD0: D9C40320 2A0000DB
	s_waitcnt lgkmcnt(8)                                       // 000000005DD8: BF8CC87F
	v_mfma_f32_32x32x64_f8f6f4 v[116:131], v[28:35], v[60:67], v[116:131]// 000000005DDC: D3AE0074 05D2791C
	ds_read_b64_tr_b8 v[44:45], v219 offset:8352               // 000000005DE4: D9C420A0 2C0000DB
	ds_read_b64_tr_b8 v[46:47], v219 offset:8608               // 000000005DEC: D9C421A0 2E0000DB
	ds_read_b64_tr_b8 v[48:49], v219 offset:8864               // 000000005DF4: D9C422A0 300000DB
	ds_read_b64_tr_b8 v[50:51], v219 offset:9120               // 000000005DFC: D9C423A0 320000DB
	s_waitcnt lgkmcnt(8)                                       // 000000005E04: BF8CC87F
	v_mfma_f32_32x32x64_f8f6f4 v[132:147], v[36:43], v[52:59], v[132:147]// 000000005E08: D3AE0084 06126924
	ds_read_b64_tr_b8 v[20:21], v219 offset:64                 // 000000005E10: D9C40040 140000DB
	ds_read_b64_tr_b8 v[22:23], v219 offset:320                // 000000005E18: D9C40140 160000DB
	ds_read_b64_tr_b8 v[24:25], v219 offset:576                // 000000005E20: D9C40240 180000DB
	ds_read_b64_tr_b8 v[26:27], v219 offset:832                // 000000005E28: D9C40340 1A0000DB
	s_waitcnt lgkmcnt(8)                                       // 000000005E30: BF8CC87F
	v_mfma_f32_32x32x64_f8f6f4 v[132:147], v[44:51], v[60:67], v[132:147]// 000000005E34: D3AE0084 0612792C
	ds_read_b64_tr_b8 v[28:29], v219 offset:8384               // 000000005E3C: D9C420C0 1C0000DB
	ds_read_b64_tr_b8 v[30:31], v219 offset:8640               // 000000005E44: D9C421C0 1E0000DB
	ds_read_b64_tr_b8 v[32:33], v219 offset:8896               // 000000005E4C: D9C422C0 200000DB
	ds_read_b64_tr_b8 v[34:35], v219 offset:9152               // 000000005E54: D9C423C0 220000DB
	s_waitcnt lgkmcnt(8)                                       // 000000005E5C: BF8CC87F
	v_mfma_f32_32x32x64_f8f6f4 v[148:163], v[20:27], v[52:59], v[148:163]// 000000005E60: D3AE0094 06526914
	ds_read_b64_tr_b8 v[36:37], v219 offset:96                 // 000000005E68: D9C40060 240000DB
	ds_read_b64_tr_b8 v[38:39], v219 offset:352                // 000000005E70: D9C40160 260000DB
	ds_read_b64_tr_b8 v[40:41], v219 offset:608                // 000000005E78: D9C40260 280000DB
	ds_read_b64_tr_b8 v[42:43], v219 offset:864                // 000000005E80: D9C40360 2A0000DB
	s_waitcnt lgkmcnt(8)                                       // 000000005E88: BF8CC87F
	v_mfma_f32_32x32x64_f8f6f4 v[148:163], v[28:35], v[60:67], v[148:163]// 000000005E8C: D3AE0094 0652791C
	ds_read_b64_tr_b8 v[44:45], v219 offset:8416               // 000000005E94: D9C420E0 2C0000DB
	ds_read_b64_tr_b8 v[46:47], v219 offset:8672               // 000000005E9C: D9C421E0 2E0000DB
	ds_read_b64_tr_b8 v[48:49], v219 offset:8928               // 000000005EA4: D9C422E0 300000DB
	ds_read_b64_tr_b8 v[50:51], v219 offset:9184               // 000000005EAC: D9C423E0 320000DB
	s_waitcnt lgkmcnt(8)                                       // 000000005EB4: BF8CC87F
	v_mfma_f32_32x32x64_f8f6f4 v[164:179], v[36:43], v[52:59], v[164:179]// 000000005EB8: D3AE00A4 06926924
	ds_read_b128 v[20:23], v218 offset:16640                   // 000000005EC0: D9FE4100 140000DA
	ds_read_b128 v[24:27], v218 offset:16672                   // 000000005EC8: D9FE4120 180000DA
	s_waitcnt lgkmcnt(6)                                       // 000000005ED0: BF8CC67F
	v_mfma_f32_32x32x64_f8f6f4 v[164:179], v[44:51], v[60:67], v[164:179]// 000000005ED4: D3AE00A4 0692792C
	ds_read_b128 v[28:31], v218 offset:20800                   // 000000005EDC: D9FE5140 1C0000DA
	ds_read_b128 v[32:35], v218 offset:20832                   // 000000005EE4: D9FE5160 200000DA
	s_addk_i32 s68, 0x80                                       // 000000005EEC: B7440080
	s_cmp_lt_i32 s68, s69                                      // 000000005EF0: BF044544
	s_cbranch_scc0 label_56A0                                  // 000000005EF4: BF840CAA
	s_waitcnt lgkmcnt(2)                                       // 000000005EF8: BF8CC27F
	v_mfma_f32_32x32x64_f8f6f4 v[52:67], v[20:27], v[4:11], 0  // 000000005EFC: D3AE0034 02020914
	v_mul_i32_i24_dpp v184, v181, v223 quad_perm:[0,0,0,0] row_mask:0xf bank_mask:0xf// 000000005F04: 0D71BEFA FF0000B5
	v_mul_i32_i24_dpp v185, v181, v223 quad_perm:[1,1,1,1] row_mask:0xf bank_mask:0xf// 000000005F0C: 0D73BEFA FF0055B5
	v_mul_i32_i24_dpp v186, v181, v223 quad_perm:[2,2,2,2] row_mask:0xf bank_mask:0xf// 000000005F14: 0D75BEFA FF00AAB5
	v_mul_i32_i24_dpp v187, v181, v223 quad_perm:[3,3,3,3] row_mask:0xf bank_mask:0xf// 000000005F1C: 0D77BEFA FF00FFB5
	v_add_u32_e32 v214, v213, v184                             // 000000005F24: 69AD71D5
	v_add_u32_e32 v215, v213, v185                             // 000000005F28: 69AF73D5
	v_add_u32_e32 v216, v213, v186                             // 000000005F2C: 69B175D5
	v_add_u32_e32 v217, v213, v187                             // 000000005F30: 69B377D5
	ds_read_b128 v[36:39], v218 offset:17152                   // 000000005F34: D9FE4300 240000DA
	ds_read_b128 v[40:43], v218 offset:17184                   // 000000005F3C: D9FE4320 280000DA
	s_waitcnt lgkmcnt(2)                                       // 000000005F44: BF8CC27F
	v_mfma_f32_32x32x64_f8f6f4 v[52:67], v[28:35], v[12:19], v[52:67]// 000000005F48: D3AE0034 04D2191C
	s_add_u32 m0, s72, 0                                       // 000000005F50: 807C8048
	buffer_load_dwordx4 v214, s[16:19], 0 offen lds            // 000000005F54: E05D1000 800400D6
	ds_read_b128 v[44:47], v218 offset:21312                   // 000000005F5C: D9FE5340 2C0000DA
	ds_read_b128 v[48:51], v218 offset:21344                   // 000000005F64: D9FE5360 300000DA
	s_waitcnt lgkmcnt(2)                                       // 000000005F6C: BF8CC27F
	v_mfma_f32_32x32x64_f8f6f4 v[68:83], v[36:43], v[4:11], 0  // 000000005F70: D3AE0044 02020924
	s_add_u32 m0, s72, 0x410                                   // 000000005F78: 807CFF48 00000410
	buffer_load_dwordx4 v215, s[16:19], 0 offen lds            // 000000005F80: E05D1000 800400D7
	ds_read_b128 v[20:23], v218 offset:24960                   // 000000005F88: D9FE6180 140000DA
	ds_read_b128 v[24:27], v218 offset:24992                   // 000000005F90: D9FE61A0 180000DA
	s_waitcnt lgkmcnt(2)                                       // 000000005F98: BF8CC27F
	v_mfma_f32_32x32x64_f8f6f4 v[68:83], v[44:51], v[12:19], v[68:83]// 000000005F9C: D3AE0044 0512192C
	s_add_u32 m0, s72, 0x820                                   // 000000005FA4: 807CFF48 00000820
	buffer_load_dwordx4 v216, s[16:19], 0 offen lds            // 000000005FAC: E05D1000 800400D8
	ds_read_b128 v[28:31], v218 offset:29120                   // 000000005FB4: D9FE71C0 1C0000DA
	ds_read_b128 v[32:35], v218 offset:29152                   // 000000005FBC: D9FE71E0 200000DA
	s_waitcnt lgkmcnt(2)                                       // 000000005FC4: BF8CC27F
	v_mfma_f32_32x32x64_f8f6f4 v[84:99], v[20:27], v[4:11], 0  // 000000005FC8: D3AE0054 02020914
	s_add_u32 m0, s72, 0xc30                                   // 000000005FD0: 807CFF48 00000C30
	buffer_load_dwordx4 v217, s[16:19], 0 offen lds            // 000000005FD8: E05D1000 800400D9
	ds_read_b128 v[36:39], v218 offset:25472                   // 000000005FE0: D9FE6380 240000DA
	ds_read_b128 v[40:43], v218 offset:25504                   // 000000005FE8: D9FE63A0 280000DA
	s_waitcnt lgkmcnt(2)                                       // 000000005FF0: BF8CC27F
	v_mfma_f32_32x32x64_f8f6f4 v[84:99], v[28:35], v[12:19], v[84:99]// 000000005FF4: D3AE0054 0552191C
	ds_read_b128 v[44:47], v218 offset:29632                   // 000000005FFC: D9FE73C0 2C0000DA
	ds_read_b128 v[48:51], v218 offset:29664                   // 000000006004: D9FE73E0 300000DA
	s_waitcnt lgkmcnt(2)                                       // 00000000600C: BF8CC27F
	v_mfma_f32_32x32x64_f8f6f4 v[100:115], v[36:43], v[4:11], 0// 000000006010: D3AE0064 02020924
	ds_read_b64_tr_b8 v[20:21], v219 offset:16640              // 000000006018: D9C44100 140000DB
	ds_read_b64_tr_b8 v[22:23], v219 offset:16896              // 000000006020: D9C44200 160000DB
	ds_read_b64_tr_b8 v[24:25], v219 offset:17152              // 000000006028: D9C44300 180000DB
	ds_read_b64_tr_b8 v[26:27], v219 offset:17408              // 000000006030: D9C44400 1A0000DB
	s_waitcnt lgkmcnt(4)                                       // 000000006038: BF8CC47F
	v_mfma_f32_32x32x64_f8f6f4 v[100:115], v[44:51], v[12:19], v[100:115]// 00000000603C: D3AE0064 0592192C
	ds_read_b64_tr_b8 v[28:29], v219 offset:24960              // 000000006044: D9C46180 1C0000DB
	ds_read_b64_tr_b8 v[30:31], v219 offset:25216              // 00000000604C: D9C46280 1E0000DB
	ds_read_b64_tr_b8 v[32:33], v219 offset:25472              // 000000006054: D9C46380 200000DB
	ds_read_b64_tr_b8 v[34:35], v219 offset:25728              // 00000000605C: D9C46480 220000DB
	s_nop 0                                                    // 000000006064: BF800000
	s_nop 4                                                    // 000000006068: BF800004
	s_barrier                                                  // 00000000606C: BF8A0000
	s_setprio 0                                                // 000000006070: BF8F0000
	s_barrier                                                  // 000000006074: BF8A0000
	v_mov_b32_e32 v193, v192                                   // 000000006078: 7F8203C0
	v_max3_f32 v193, v52, v53, v193                            // 00000000607C: D1D300C1 07066B34
	v_max3_f32 v193, v54, v55, v193                            // 000000006084: D1D300C1 07066F36
	v_max3_f32 v193, v56, v57, v193                            // 00000000608C: D1D300C1 07067338
	v_max3_f32 v193, v58, v59, v193                            // 000000006094: D1D300C1 0706773A
	v_max3_f32 v193, v60, v61, v193                            // 00000000609C: D1D300C1 07067B3C
	v_max3_f32 v193, v62, v63, v193                            // 0000000060A4: D1D300C1 07067F3E
	v_max3_f32 v193, v64, v65, v193                            // 0000000060AC: D1D300C1 07068340
	v_max3_f32 v193, v66, v67, v193                            // 0000000060B4: D1D300C1 07068742
	v_max3_f32 v193, v68, v69, v193                            // 0000000060BC: D1D300C1 07068B44
	v_max3_f32 v193, v70, v71, v193                            // 0000000060C4: D1D300C1 07068F46
	v_max3_f32 v193, v72, v73, v193                            // 0000000060CC: D1D300C1 07069348
	v_max3_f32 v193, v74, v75, v193                            // 0000000060D4: D1D300C1 0706974A
	v_max3_f32 v193, v76, v77, v193                            // 0000000060DC: D1D300C1 07069B4C
	v_max3_f32 v193, v78, v79, v193                            // 0000000060E4: D1D300C1 07069F4E
	v_max3_f32 v193, v80, v81, v193                            // 0000000060EC: D1D300C1 0706A350
	v_max3_f32 v193, v82, v83, v193                            // 0000000060F4: D1D300C1 0706A752
	v_max3_f32 v193, v84, v85, v193                            // 0000000060FC: D1D300C1 0706AB54
	v_max3_f32 v193, v86, v87, v193                            // 000000006104: D1D300C1 0706AF56
	v_max3_f32 v193, v88, v89, v193                            // 00000000610C: D1D300C1 0706B358
	v_max3_f32 v193, v90, v91, v193                            // 000000006114: D1D300C1 0706B75A
	v_max3_f32 v193, v92, v93, v193                            // 00000000611C: D1D300C1 0706BB5C
	v_max3_f32 v193, v94, v95, v193                            // 000000006124: D1D300C1 0706BF5E
	v_max3_f32 v193, v96, v97, v193                            // 00000000612C: D1D300C1 0706C360
	v_max3_f32 v193, v98, v99, v193                            // 000000006134: D1D300C1 0706C762
	v_max3_f32 v193, v100, v101, v193                          // 00000000613C: D1D300C1 0706CB64
	v_max3_f32 v193, v102, v103, v193                          // 000000006144: D1D300C1 0706CF66
	v_max3_f32 v193, v104, v105, v193                          // 00000000614C: D1D300C1 0706D368
	v_max3_f32 v193, v106, v107, v193                          // 000000006154: D1D300C1 0706D76A
	v_max3_f32 v193, v108, v109, v193                          // 00000000615C: D1D300C1 0706DB6C
	v_max3_f32 v193, v110, v111, v193                          // 000000006164: D1D300C1 0706DF6E
	v_max3_f32 v193, v112, v113, v193                          // 00000000616C: D1D300C1 0706E370
	v_max3_f32 v193, v114, v115, v193                          // 000000006174: D1D300C1 0706E772
	v_mov_b32_e32 v184, v193                                   // 00000000617C: 7F7003C1
	s_nop 1                                                    // 000000006180: BF800001
	s_nop 0                                                    // 000000006184: BF800000
	v_permlane32_swap_b32_e32 v184, v193                       // 000000006188: 7F70B5C1
	v_max_f32_e32 v193, v193, v184                             // 00000000618C: 178371C1
	v_cmp_eq_u32_e64 s[66:67], v197, v193                      // 000000006190: D0CA0042 000383C5
	s_nop 0                                                    // 000000006198: BF800000
	v_cndmask_b32_e64 v193, v193, 0, s[66:67]                  // 00000000619C: D10000C1 010901C1
	v_mul_f32_e64 v184, -s26, v193                             // 0000000061A4: D10500B8 2003821A
	v_mov_b32_e32 v185, v184                                   // 0000000061AC: 7F7203B8
	v_pk_fma_f32 v[52:53], v[52:53], s[26:27], v[184:185]      // 0000000061B0: D3B04034 1EE03534
	v_pk_fma_f32 v[54:55], v[54:55], s[26:27], v[184:185]      // 0000000061B8: D3B04036 1EE03536
	v_pk_fma_f32 v[56:57], v[56:57], s[26:27], v[184:185]      // 0000000061C0: D3B04038 1EE03538
	v_pk_fma_f32 v[58:59], v[58:59], s[26:27], v[184:185]      // 0000000061C8: D3B0403A 1EE0353A
	v_pk_fma_f32 v[60:61], v[60:61], s[26:27], v[184:185]      // 0000000061D0: D3B0403C 1EE0353C
	v_pk_fma_f32 v[62:63], v[62:63], s[26:27], v[184:185]      // 0000000061D8: D3B0403E 1EE0353E
	v_pk_fma_f32 v[64:65], v[64:65], s[26:27], v[184:185]      // 0000000061E0: D3B04040 1EE03540
	v_pk_fma_f32 v[66:67], v[66:67], s[26:27], v[184:185]      // 0000000061E8: D3B04042 1EE03542
	v_pk_fma_f32 v[68:69], v[68:69], s[26:27], v[184:185]      // 0000000061F0: D3B04044 1EE03544
	v_pk_fma_f32 v[70:71], v[70:71], s[26:27], v[184:185]      // 0000000061F8: D3B04046 1EE03546
	v_pk_fma_f32 v[72:73], v[72:73], s[26:27], v[184:185]      // 000000006200: D3B04048 1EE03548
	v_pk_fma_f32 v[74:75], v[74:75], s[26:27], v[184:185]      // 000000006208: D3B0404A 1EE0354A
	v_pk_fma_f32 v[76:77], v[76:77], s[26:27], v[184:185]      // 000000006210: D3B0404C 1EE0354C
	v_pk_fma_f32 v[78:79], v[78:79], s[26:27], v[184:185]      // 000000006218: D3B0404E 1EE0354E
	v_pk_fma_f32 v[80:81], v[80:81], s[26:27], v[184:185]      // 000000006220: D3B04050 1EE03550
	v_pk_fma_f32 v[82:83], v[82:83], s[26:27], v[184:185]      // 000000006228: D3B04052 1EE03552
	v_pk_fma_f32 v[84:85], v[84:85], s[26:27], v[184:185]      // 000000006230: D3B04054 1EE03554
	v_pk_fma_f32 v[86:87], v[86:87], s[26:27], v[184:185]      // 000000006238: D3B04056 1EE03556
	v_pk_fma_f32 v[88:89], v[88:89], s[26:27], v[184:185]      // 000000006240: D3B04058 1EE03558
	v_pk_fma_f32 v[90:91], v[90:91], s[26:27], v[184:185]      // 000000006248: D3B0405A 1EE0355A
	v_pk_fma_f32 v[92:93], v[92:93], s[26:27], v[184:185]      // 000000006250: D3B0405C 1EE0355C
	v_pk_fma_f32 v[94:95], v[94:95], s[26:27], v[184:185]      // 000000006258: D3B0405E 1EE0355E
	v_pk_fma_f32 v[96:97], v[96:97], s[26:27], v[184:185]      // 000000006260: D3B04060 1EE03560
	v_pk_fma_f32 v[98:99], v[98:99], s[26:27], v[184:185]      // 000000006268: D3B04062 1EE03562
	v_pk_fma_f32 v[100:101], v[100:101], s[26:27], v[184:185]  // 000000006270: D3B04064 1EE03564
	v_pk_fma_f32 v[102:103], v[102:103], s[26:27], v[184:185]  // 000000006278: D3B04066 1EE03566
	v_pk_fma_f32 v[104:105], v[104:105], s[26:27], v[184:185]  // 000000006280: D3B04068 1EE03568
	v_pk_fma_f32 v[106:107], v[106:107], s[26:27], v[184:185]  // 000000006288: D3B0406A 1EE0356A
	v_pk_fma_f32 v[108:109], v[108:109], s[26:27], v[184:185]  // 000000006290: D3B0406C 1EE0356C
	v_pk_fma_f32 v[110:111], v[110:111], s[26:27], v[184:185]  // 000000006298: D3B0406E 1EE0356E
	v_pk_fma_f32 v[112:113], v[112:113], s[26:27], v[184:185]  // 0000000062A0: D3B04070 1EE03570
	v_pk_fma_f32 v[114:115], v[114:115], s[26:27], v[184:185]  // 0000000062A8: D3B04072 1EE03572
	s_barrier                                                  // 0000000062B0: BF8A0000
	v_exp_f32_e32 v52, v52                                     // 0000000062B4: 7E684134
	v_exp_f32_e32 v53, v53                                     // 0000000062B8: 7E6A4135
	v_exp_f32_e32 v54, v54                                     // 0000000062BC: 7E6C4136
	v_exp_f32_e32 v55, v55                                     // 0000000062C0: 7E6E4137
	v_exp_f32_e32 v56, v56                                     // 0000000062C4: 7E704138
	v_exp_f32_e32 v57, v57                                     // 0000000062C8: 7E724139
	v_exp_f32_e32 v58, v58                                     // 0000000062CC: 7E74413A
	v_exp_f32_e32 v59, v59                                     // 0000000062D0: 7E76413B
	v_exp_f32_e32 v60, v60                                     // 0000000062D4: 7E78413C
	v_exp_f32_e32 v61, v61                                     // 0000000062D8: 7E7A413D
	v_exp_f32_e32 v62, v62                                     // 0000000062DC: 7E7C413E
	v_exp_f32_e32 v63, v63                                     // 0000000062E0: 7E7E413F
	v_exp_f32_e32 v64, v64                                     // 0000000062E4: 7E804140
	v_exp_f32_e32 v65, v65                                     // 0000000062E8: 7E824141
	v_exp_f32_e32 v66, v66                                     // 0000000062EC: 7E844142
	v_exp_f32_e32 v67, v67                                     // 0000000062F0: 7E864143
	v_exp_f32_e32 v68, v68                                     // 0000000062F4: 7E884144
	v_exp_f32_e32 v69, v69                                     // 0000000062F8: 7E8A4145
	v_exp_f32_e32 v70, v70                                     // 0000000062FC: 7E8C4146
	v_exp_f32_e32 v71, v71                                     // 000000006300: 7E8E4147
	v_exp_f32_e32 v72, v72                                     // 000000006304: 7E904148
	v_exp_f32_e32 v73, v73                                     // 000000006308: 7E924149
	v_exp_f32_e32 v74, v74                                     // 00000000630C: 7E94414A
	v_exp_f32_e32 v75, v75                                     // 000000006310: 7E96414B
	v_exp_f32_e32 v76, v76                                     // 000000006314: 7E98414C
	v_exp_f32_e32 v77, v77                                     // 000000006318: 7E9A414D
	v_exp_f32_e32 v78, v78                                     // 00000000631C: 7E9C414E
	v_exp_f32_e32 v79, v79                                     // 000000006320: 7E9E414F
	v_exp_f32_e32 v80, v80                                     // 000000006324: 7EA04150
	v_exp_f32_e32 v81, v81                                     // 000000006328: 7EA24151
	v_exp_f32_e32 v82, v82                                     // 00000000632C: 7EA44152
	v_exp_f32_e32 v83, v83                                     // 000000006330: 7EA64153
	v_exp_f32_e32 v84, v84                                     // 000000006334: 7EA84154
	v_exp_f32_e32 v85, v85                                     // 000000006338: 7EAA4155
	v_exp_f32_e32 v86, v86                                     // 00000000633C: 7EAC4156
	v_exp_f32_e32 v87, v87                                     // 000000006340: 7EAE4157
	v_exp_f32_e32 v88, v88                                     // 000000006344: 7EB04158
	v_exp_f32_e32 v89, v89                                     // 000000006348: 7EB24159
	v_exp_f32_e32 v90, v90                                     // 00000000634C: 7EB4415A
	v_exp_f32_e32 v91, v91                                     // 000000006350: 7EB6415B
	v_exp_f32_e32 v92, v92                                     // 000000006354: 7EB8415C
	v_exp_f32_e32 v93, v93                                     // 000000006358: 7EBA415D
	v_exp_f32_e32 v94, v94                                     // 00000000635C: 7EBC415E
	v_exp_f32_e32 v95, v95                                     // 000000006360: 7EBE415F
	v_exp_f32_e32 v96, v96                                     // 000000006364: 7EC04160
	v_exp_f32_e32 v97, v97                                     // 000000006368: 7EC24161
	v_exp_f32_e32 v98, v98                                     // 00000000636C: 7EC44162
	v_exp_f32_e32 v99, v99                                     // 000000006370: 7EC64163
	v_exp_f32_e32 v100, v100                                   // 000000006374: 7EC84164
	v_exp_f32_e32 v101, v101                                   // 000000006378: 7ECA4165
	v_exp_f32_e32 v102, v102                                   // 00000000637C: 7ECC4166
	v_exp_f32_e32 v103, v103                                   // 000000006380: 7ECE4167
	v_exp_f32_e32 v104, v104                                   // 000000006384: 7ED04168
	v_exp_f32_e32 v105, v105                                   // 000000006388: 7ED24169
	v_exp_f32_e32 v106, v106                                   // 00000000638C: 7ED4416A
	v_exp_f32_e32 v107, v107                                   // 000000006390: 7ED6416B
	v_exp_f32_e32 v108, v108                                   // 000000006394: 7ED8416C
	v_exp_f32_e32 v109, v109                                   // 000000006398: 7EDA416D
	v_exp_f32_e32 v110, v110                                   // 00000000639C: 7EDC416E
	v_exp_f32_e32 v111, v111                                   // 0000000063A0: 7EDE416F
	v_exp_f32_e32 v112, v112                                   // 0000000063A4: 7EE04170
	v_exp_f32_e32 v113, v113                                   // 0000000063A8: 7EE24171
	v_exp_f32_e32 v114, v114                                   // 0000000063AC: 7EE44172
	v_exp_f32_e32 v115, v115                                   // 0000000063B0: 7EE64173
	v_sub_f32_e32 v188, v192, v193                             // 0000000063B4: 057983C0
	v_cmp_eq_u32_e64 s[66:67], v197, v192                      // 0000000063B8: D0CA0042 000381C5
	s_nop 0                                                    // 0000000063C0: BF800000
	v_cndmask_b32_e64 v188, v188, 0, s[66:67]                  // 0000000063C4: D10000BC 010901BC
	v_mov_b32_e32 v192, v193                                   // 0000000063CC: 7F8003C1
	v_mul_f32_e32 v188, s26, v188                              // 0000000063D0: 0B79781A
	v_exp_f32_e32 v188, v188                                   // 0000000063D4: 7F7841BC
	s_nop 0                                                    // 0000000063D8: BF800000
	v_mul_f32_e32 v190, v188, v190                             // 0000000063DC: 0B7D7DBC
	v_add_f32_e32 v190, v52, v190                              // 0000000063E0: 037D7D34
	v_add_f32_e32 v190, v53, v190                              // 0000000063E4: 037D7D35
	v_add_f32_e32 v190, v54, v190                              // 0000000063E8: 037D7D36
	v_add_f32_e32 v190, v55, v190                              // 0000000063EC: 037D7D37
	v_add_f32_e32 v190, v56, v190                              // 0000000063F0: 037D7D38
	v_add_f32_e32 v190, v57, v190                              // 0000000063F4: 037D7D39
	v_add_f32_e32 v190, v58, v190                              // 0000000063F8: 037D7D3A
	v_add_f32_e32 v190, v59, v190                              // 0000000063FC: 037D7D3B
	v_add_f32_e32 v190, v60, v190                              // 000000006400: 037D7D3C
	v_add_f32_e32 v190, v61, v190                              // 000000006404: 037D7D3D
	v_add_f32_e32 v190, v62, v190                              // 000000006408: 037D7D3E
	v_add_f32_e32 v190, v63, v190                              // 00000000640C: 037D7D3F
	v_add_f32_e32 v190, v64, v190                              // 000000006410: 037D7D40
	v_add_f32_e32 v190, v65, v190                              // 000000006414: 037D7D41
	v_add_f32_e32 v190, v66, v190                              // 000000006418: 037D7D42
	v_add_f32_e32 v190, v67, v190                              // 00000000641C: 037D7D43
	v_add_f32_e32 v190, v68, v190                              // 000000006420: 037D7D44
	v_add_f32_e32 v190, v69, v190                              // 000000006424: 037D7D45
	v_add_f32_e32 v190, v70, v190                              // 000000006428: 037D7D46
	v_add_f32_e32 v190, v71, v190                              // 00000000642C: 037D7D47
	v_add_f32_e32 v190, v72, v190                              // 000000006430: 037D7D48
	v_add_f32_e32 v190, v73, v190                              // 000000006434: 037D7D49
	v_add_f32_e32 v190, v74, v190                              // 000000006438: 037D7D4A
	v_add_f32_e32 v190, v75, v190                              // 00000000643C: 037D7D4B
	v_add_f32_e32 v190, v76, v190                              // 000000006440: 037D7D4C
	v_add_f32_e32 v190, v77, v190                              // 000000006444: 037D7D4D
	v_add_f32_e32 v190, v78, v190                              // 000000006448: 037D7D4E
	v_add_f32_e32 v190, v79, v190                              // 00000000644C: 037D7D4F
	v_add_f32_e32 v190, v80, v190                              // 000000006450: 037D7D50
	v_add_f32_e32 v190, v81, v190                              // 000000006454: 037D7D51
	v_add_f32_e32 v190, v82, v190                              // 000000006458: 037D7D52
	v_add_f32_e32 v190, v83, v190                              // 00000000645C: 037D7D53
	v_add_f32_e32 v190, v84, v190                              // 000000006460: 037D7D54
	v_add_f32_e32 v190, v85, v190                              // 000000006464: 037D7D55
	v_add_f32_e32 v190, v86, v190                              // 000000006468: 037D7D56
	v_add_f32_e32 v190, v87, v190                              // 00000000646C: 037D7D57
	v_add_f32_e32 v190, v88, v190                              // 000000006470: 037D7D58
	v_add_f32_e32 v190, v89, v190                              // 000000006474: 037D7D59
	v_add_f32_e32 v190, v90, v190                              // 000000006478: 037D7D5A
	v_add_f32_e32 v190, v91, v190                              // 00000000647C: 037D7D5B
	v_add_f32_e32 v190, v92, v190                              // 000000006480: 037D7D5C
	v_add_f32_e32 v190, v93, v190                              // 000000006484: 037D7D5D
	v_add_f32_e32 v190, v94, v190                              // 000000006488: 037D7D5E
	v_add_f32_e32 v190, v95, v190                              // 00000000648C: 037D7D5F
	v_add_f32_e32 v190, v96, v190                              // 000000006490: 037D7D60
	v_add_f32_e32 v190, v97, v190                              // 000000006494: 037D7D61
	v_add_f32_e32 v190, v98, v190                              // 000000006498: 037D7D62
	v_add_f32_e32 v190, v99, v190                              // 00000000649C: 037D7D63
	v_add_f32_e32 v190, v100, v190                             // 0000000064A0: 037D7D64
	v_add_f32_e32 v190, v101, v190                             // 0000000064A4: 037D7D65
	v_add_f32_e32 v190, v102, v190                             // 0000000064A8: 037D7D66
	v_add_f32_e32 v190, v103, v190                             // 0000000064AC: 037D7D67
	v_add_f32_e32 v190, v104, v190                             // 0000000064B0: 037D7D68
	v_add_f32_e32 v190, v105, v190                             // 0000000064B4: 037D7D69
	v_add_f32_e32 v190, v106, v190                             // 0000000064B8: 037D7D6A
	v_add_f32_e32 v190, v107, v190                             // 0000000064BC: 037D7D6B
	v_add_f32_e32 v190, v108, v190                             // 0000000064C0: 037D7D6C
	v_add_f32_e32 v190, v109, v190                             // 0000000064C4: 037D7D6D
	v_add_f32_e32 v190, v110, v190                             // 0000000064C8: 037D7D6E
	v_add_f32_e32 v190, v111, v190                             // 0000000064CC: 037D7D6F
	v_add_f32_e32 v190, v112, v190                             // 0000000064D0: 037D7D70
	v_add_f32_e32 v190, v113, v190                             // 0000000064D4: 037D7D71
	v_add_f32_e32 v190, v114, v190                             // 0000000064D8: 037D7D72
	v_add_f32_e32 v190, v115, v190                             // 0000000064DC: 037D7D73
	v_mul_f32_e32 v116, v188, v116                             // 0000000064E0: 0AE8E9BC
	v_mul_f32_e32 v117, v188, v117                             // 0000000064E4: 0AEAEBBC
	v_mul_f32_e32 v118, v188, v118                             // 0000000064E8: 0AECEDBC
	v_mul_f32_e32 v119, v188, v119                             // 0000000064EC: 0AEEEFBC
	v_mul_f32_e32 v120, v188, v120                             // 0000000064F0: 0AF0F1BC
	v_mul_f32_e32 v121, v188, v121                             // 0000000064F4: 0AF2F3BC
	v_mul_f32_e32 v122, v188, v122                             // 0000000064F8: 0AF4F5BC
	v_mul_f32_e32 v123, v188, v123                             // 0000000064FC: 0AF6F7BC
	v_mul_f32_e32 v124, v188, v124                             // 000000006500: 0AF8F9BC
	v_mul_f32_e32 v125, v188, v125                             // 000000006504: 0AFAFBBC
	v_mul_f32_e32 v126, v188, v126                             // 000000006508: 0AFCFDBC
	v_mul_f32_e32 v127, v188, v127                             // 00000000650C: 0AFEFFBC
	v_mul_f32_e32 v128, v188, v128                             // 000000006510: 0B0101BC
	v_mul_f32_e32 v129, v188, v129                             // 000000006514: 0B0303BC
	v_mul_f32_e32 v130, v188, v130                             // 000000006518: 0B0505BC
	v_mul_f32_e32 v131, v188, v131                             // 00000000651C: 0B0707BC
	v_mul_f32_e32 v132, v188, v132                             // 000000006520: 0B0909BC
	v_mul_f32_e32 v133, v188, v133                             // 000000006524: 0B0B0BBC
	v_mul_f32_e32 v134, v188, v134                             // 000000006528: 0B0D0DBC
	v_mul_f32_e32 v135, v188, v135                             // 00000000652C: 0B0F0FBC
	v_mul_f32_e32 v136, v188, v136                             // 000000006530: 0B1111BC
	v_mul_f32_e32 v137, v188, v137                             // 000000006534: 0B1313BC
	v_mul_f32_e32 v138, v188, v138                             // 000000006538: 0B1515BC
	v_mul_f32_e32 v139, v188, v139                             // 00000000653C: 0B1717BC
	v_mul_f32_e32 v140, v188, v140                             // 000000006540: 0B1919BC
	s_waitcnt vmcnt(0)                                         // 000000006544: BF8C0F70
	s_barrier                                                  // 000000006548: BF8A0000
	v_mul_f32_e32 v141, v188, v141                             // 00000000654C: 0B1B1BBC
	v_mul_f32_e32 v142, v188, v142                             // 000000006550: 0B1D1DBC
	v_mul_f32_e32 v143, v188, v143                             // 000000006554: 0B1F1FBC
	v_mul_f32_e32 v144, v188, v144                             // 000000006558: 0B2121BC
	v_mul_f32_e32 v145, v188, v145                             // 00000000655C: 0B2323BC
	v_mul_f32_e32 v146, v188, v146                             // 000000006560: 0B2525BC
	v_mul_f32_e32 v147, v188, v147                             // 000000006564: 0B2727BC
	v_mul_f32_e32 v148, v188, v148                             // 000000006568: 0B2929BC
	v_mul_f32_e32 v149, v188, v149                             // 00000000656C: 0B2B2BBC
	v_mul_f32_e32 v150, v188, v150                             // 000000006570: 0B2D2DBC
	v_mul_f32_e32 v151, v188, v151                             // 000000006574: 0B2F2FBC
	v_mul_f32_e32 v152, v188, v152                             // 000000006578: 0B3131BC
	v_mul_f32_e32 v153, v188, v153                             // 00000000657C: 0B3333BC
	v_mul_f32_e32 v154, v188, v154                             // 000000006580: 0B3535BC
	v_mul_f32_e32 v155, v188, v155                             // 000000006584: 0B3737BC
	v_mul_f32_e32 v156, v188, v156                             // 000000006588: 0B3939BC
	v_mul_f32_e32 v157, v188, v157                             // 00000000658C: 0B3B3BBC
	v_mul_f32_e32 v158, v188, v158                             // 000000006590: 0B3D3DBC
	v_mul_f32_e32 v159, v188, v159                             // 000000006594: 0B3F3FBC
	v_mul_f32_e32 v160, v188, v160                             // 000000006598: 0B4141BC
	v_mul_f32_e32 v161, v188, v161                             // 00000000659C: 0B4343BC
	v_mul_f32_e32 v162, v188, v162                             // 0000000065A0: 0B4545BC
	v_mul_f32_e32 v163, v188, v163                             // 0000000065A4: 0B4747BC
	v_mul_f32_e32 v164, v188, v164                             // 0000000065A8: 0B4949BC
	v_mul_f32_e32 v165, v188, v165                             // 0000000065AC: 0B4B4BBC
	v_mul_f32_e32 v166, v188, v166                             // 0000000065B0: 0B4D4DBC
	v_mul_f32_e32 v167, v188, v167                             // 0000000065B4: 0B4F4FBC
	v_mul_f32_e32 v168, v188, v168                             // 0000000065B8: 0B5151BC
	v_mul_f32_e32 v169, v188, v169                             // 0000000065BC: 0B5353BC
	v_mul_f32_e32 v170, v188, v170                             // 0000000065C0: 0B5555BC
	v_mul_f32_e32 v171, v188, v171                             // 0000000065C4: 0B5757BC
	v_mul_f32_e32 v172, v188, v172                             // 0000000065C8: 0B5959BC
	v_mul_f32_e32 v173, v188, v173                             // 0000000065CC: 0B5B5BBC
	v_mul_f32_e32 v174, v188, v174                             // 0000000065D0: 0B5D5DBC
	v_mul_f32_e32 v175, v188, v175                             // 0000000065D4: 0B5F5FBC
	v_mul_f32_e32 v176, v188, v176                             // 0000000065D8: 0B6161BC
	v_mul_f32_e32 v177, v188, v177                             // 0000000065DC: 0B6363BC
	v_mul_f32_e32 v178, v188, v178                             // 0000000065E0: 0B6565BC
	v_mul_f32_e32 v179, v188, v179                             // 0000000065E4: 0B6767BC
	s_barrier                                                  // 0000000065E8: BF8A0000
	v_cvt_pk_fp8_f32 v52, v52, v53                             // 0000000065EC: D2A20034 00026B34
	v_cvt_pk_fp8_f32 v52, v54, v55 op_sel:[0,0,1]              // 0000000065F4: D2A24034 00026F36
	v_cvt_pk_fp8_f32 v53, v56, v57                             // 0000000065FC: D2A20035 00027338
	v_cvt_pk_fp8_f32 v53, v58, v59 op_sel:[0,0,1]              // 000000006604: D2A24035 0002773A
	v_cvt_pk_fp8_f32 v54, v60, v61                             // 00000000660C: D2A20036 00027B3C
	v_cvt_pk_fp8_f32 v54, v62, v63 op_sel:[0,0,1]              // 000000006614: D2A24036 00027F3E
	v_cvt_pk_fp8_f32 v55, v64, v65                             // 00000000661C: D2A20037 00028340
	v_cvt_pk_fp8_f32 v55, v66, v67 op_sel:[0,0,1]              // 000000006624: D2A24037 00028742
	v_cvt_pk_fp8_f32 v56, v68, v69                             // 00000000662C: D2A20038 00028B44
	v_cvt_pk_fp8_f32 v56, v70, v71 op_sel:[0,0,1]              // 000000006634: D2A24038 00028F46
	v_cvt_pk_fp8_f32 v57, v72, v73                             // 00000000663C: D2A20039 00029348
	v_cvt_pk_fp8_f32 v57, v74, v75 op_sel:[0,0,1]              // 000000006644: D2A24039 0002974A
	v_cvt_pk_fp8_f32 v58, v76, v77                             // 00000000664C: D2A2003A 00029B4C
	v_cvt_pk_fp8_f32 v58, v78, v79 op_sel:[0,0,1]              // 000000006654: D2A2403A 00029F4E
	v_cvt_pk_fp8_f32 v59, v80, v81                             // 00000000665C: D2A2003B 0002A350
	v_cvt_pk_fp8_f32 v59, v82, v83 op_sel:[0,0,1]              // 000000006664: D2A2403B 0002A752
	v_cvt_pk_fp8_f32 v60, v84, v85                             // 00000000666C: D2A2003C 0002AB54
	v_cvt_pk_fp8_f32 v60, v86, v87 op_sel:[0,0,1]              // 000000006674: D2A2403C 0002AF56
	v_cvt_pk_fp8_f32 v61, v88, v89                             // 00000000667C: D2A2003D 0002B358
	v_cvt_pk_fp8_f32 v61, v90, v91 op_sel:[0,0,1]              // 000000006684: D2A2403D 0002B75A
	v_cvt_pk_fp8_f32 v62, v92, v93                             // 00000000668C: D2A2003E 0002BB5C
	v_cvt_pk_fp8_f32 v62, v94, v95 op_sel:[0,0,1]              // 000000006694: D2A2403E 0002BF5E
	v_cvt_pk_fp8_f32 v63, v96, v97                             // 00000000669C: D2A2003F 0002C360
	v_cvt_pk_fp8_f32 v63, v98, v99 op_sel:[0,0,1]              // 0000000066A4: D2A2403F 0002C762
	v_cvt_pk_fp8_f32 v64, v100, v101                           // 0000000066AC: D2A20040 0002CB64
	v_cvt_pk_fp8_f32 v64, v102, v103 op_sel:[0,0,1]            // 0000000066B4: D2A24040 0002CF66
	v_cvt_pk_fp8_f32 v65, v104, v105                           // 0000000066BC: D2A20041 0002D368
	v_cvt_pk_fp8_f32 v65, v106, v107 op_sel:[0,0,1]            // 0000000066C4: D2A24041 0002D76A
	v_cvt_pk_fp8_f32 v66, v108, v109                           // 0000000066CC: D2A20042 0002DB6C
	v_cvt_pk_fp8_f32 v66, v110, v111 op_sel:[0,0,1]            // 0000000066D4: D2A24042 0002DF6E
	v_cvt_pk_fp8_f32 v67, v112, v113                           // 0000000066DC: D2A20043 0002E370
	v_cvt_pk_fp8_f32 v67, v114, v115 op_sel:[0,0,1]            // 0000000066E4: D2A24043 0002E772
	s_barrier                                                  // 0000000066EC: BF8A0000
	s_waitcnt lgkmcnt(8)                                       // 0000000066F0: BF8CC87F
	s_setprio 1                                                // 0000000066F4: BF8F0001
	s_barrier                                                  // 0000000066F8: BF8A0000
	v_mfma_f32_32x32x64_f8f6f4 v[116:131], v[20:27], v[52:59], v[116:131]// 0000000066FC: D3AE0074 05D26914
	ds_read_b64_tr_b8 v[36:37], v219 offset:16672              // 000000006704: D9C44120 240000DB
	ds_read_b64_tr_b8 v[38:39], v219 offset:16928              // 00000000670C: D9C44220 260000DB
	ds_read_b64_tr_b8 v[40:41], v219 offset:17184              // 000000006714: D9C44320 280000DB
	ds_read_b64_tr_b8 v[42:43], v219 offset:17440              // 00000000671C: D9C44420 2A0000DB
	s_waitcnt lgkmcnt(8)                                       // 000000006724: BF8CC87F
	v_mfma_f32_32x32x64_f8f6f4 v[116:131], v[28:35], v[60:67], v[116:131]// 000000006728: D3AE0074 05D2791C
	ds_read_b64_tr_b8 v[44:45], v219 offset:24992              // 000000006730: D9C461A0 2C0000DB
	ds_read_b64_tr_b8 v[46:47], v219 offset:25248              // 000000006738: D9C462A0 2E0000DB
	ds_read_b64_tr_b8 v[48:49], v219 offset:25504              // 000000006740: D9C463A0 300000DB
	ds_read_b64_tr_b8 v[50:51], v219 offset:25760              // 000000006748: D9C464A0 320000DB
	s_waitcnt lgkmcnt(8)                                       // 000000006750: BF8CC87F
	v_mfma_f32_32x32x64_f8f6f4 v[132:147], v[36:43], v[52:59], v[132:147]// 000000006754: D3AE0084 06126924
	ds_read_b64_tr_b8 v[20:21], v219 offset:16704              // 00000000675C: D9C44140 140000DB
	ds_read_b64_tr_b8 v[22:23], v219 offset:16960              // 000000006764: D9C44240 160000DB
	ds_read_b64_tr_b8 v[24:25], v219 offset:17216              // 00000000676C: D9C44340 180000DB
	ds_read_b64_tr_b8 v[26:27], v219 offset:17472              // 000000006774: D9C44440 1A0000DB
	s_waitcnt lgkmcnt(8)                                       // 00000000677C: BF8CC87F
	v_mfma_f32_32x32x64_f8f6f4 v[132:147], v[44:51], v[60:67], v[132:147]// 000000006780: D3AE0084 0612792C
	ds_read_b64_tr_b8 v[28:29], v219 offset:25024              // 000000006788: D9C461C0 1C0000DB
	ds_read_b64_tr_b8 v[30:31], v219 offset:25280              // 000000006790: D9C462C0 1E0000DB
	ds_read_b64_tr_b8 v[32:33], v219 offset:25536              // 000000006798: D9C463C0 200000DB
	ds_read_b64_tr_b8 v[34:35], v219 offset:25792              // 0000000067A0: D9C464C0 220000DB
	s_waitcnt lgkmcnt(8)                                       // 0000000067A8: BF8CC87F
	v_mfma_f32_32x32x64_f8f6f4 v[148:163], v[20:27], v[52:59], v[148:163]// 0000000067AC: D3AE0094 06526914
	ds_read_b64_tr_b8 v[36:37], v219 offset:16736              // 0000000067B4: D9C44160 240000DB
	ds_read_b64_tr_b8 v[38:39], v219 offset:16992              // 0000000067BC: D9C44260 260000DB
	ds_read_b64_tr_b8 v[40:41], v219 offset:17248              // 0000000067C4: D9C44360 280000DB
	ds_read_b64_tr_b8 v[42:43], v219 offset:17504              // 0000000067CC: D9C44460 2A0000DB
	s_waitcnt lgkmcnt(8)                                       // 0000000067D4: BF8CC87F
	v_mfma_f32_32x32x64_f8f6f4 v[148:163], v[28:35], v[60:67], v[148:163]// 0000000067D8: D3AE0094 0652791C
	ds_read_b64_tr_b8 v[44:45], v219 offset:25056              // 0000000067E0: D9C461E0 2C0000DB
	ds_read_b64_tr_b8 v[46:47], v219 offset:25312              // 0000000067E8: D9C462E0 2E0000DB
	ds_read_b64_tr_b8 v[48:49], v219 offset:25568              // 0000000067F0: D9C463E0 300000DB
	ds_read_b64_tr_b8 v[50:51], v219 offset:25824              // 0000000067F8: D9C464E0 320000DB
	s_waitcnt lgkmcnt(8)                                       // 000000006800: BF8CC87F
	v_mfma_f32_32x32x64_f8f6f4 v[164:179], v[36:43], v[52:59], v[164:179]// 000000006804: D3AE00A4 06926924
	ds_read_b128 v[20:23], v218                                // 00000000680C: D9FE0000 140000DA
	ds_read_b128 v[24:27], v218 offset:32                      // 000000006814: D9FE0020 180000DA
	s_waitcnt lgkmcnt(6)                                       // 00000000681C: BF8CC67F
	v_mfma_f32_32x32x64_f8f6f4 v[164:179], v[44:51], v[60:67], v[164:179]// 000000006820: D3AE00A4 0692792C
	ds_read_b128 v[28:31], v218 offset:4160                    // 000000006828: D9FE1040 1C0000DA
	ds_read_b128 v[32:35], v218 offset:4192                    // 000000006830: D9FE1060 200000DA
	s_addk_i32 s68, 0x80                                       // 000000006838: B7440080
	s_branch label_1A8C                                        // 00000000683C: BF82FB53

0000000000006840 <label_2D40>:
	s_cmp_lt_i32 s68, s43                                      // 000000006840: BF042B44
	s_cbranch_scc0 label_6470                                  // 000000006844: BF840DCA
	s_waitcnt lgkmcnt(2)                                       // 000000006848: BF8CC27F
	v_mfma_f32_32x32x64_f8f6f4 v[52:67], v[20:27], v[4:11], 0  // 00000000684C: D3AE0034 02020914
	v_mul_i32_i24_dpp v184, v180, v222 quad_perm:[2,2,2,2] row_mask:0xf bank_mask:0xf// 000000006854: 0D71BCFA FF00AAB4
	v_mul_i32_i24_dpp v185, v180, v222 quad_perm:[3,3,3,3] row_mask:0xf bank_mask:0xf// 00000000685C: 0D73BCFA FF00FFB4
	v_add_u32_e32 v211, v210, v184                             // 000000006864: 69A771D2
	v_add_u32_e32 v212, v210, v185                             // 000000006868: 69A973D2
	ds_read_b128 v[36:39], v218 offset:512                     // 00000000686C: D9FE0200 240000DA
	ds_read_b128 v[40:43], v218 offset:544                     // 000000006874: D9FE0220 280000DA
	s_waitcnt lgkmcnt(2)                                       // 00000000687C: BF8CC27F
	v_mfma_f32_32x32x64_f8f6f4 v[52:67], v[28:35], v[12:19], v[52:67]// 000000006880: D3AE0034 04D2191C
	s_add_u32 m0, s71, 0x4100                                  // 000000006888: 807CFF47 00004100
	buffer_load_dwordx4 v211, s[12:15], 0 offen lds            // 000000006890: E05D1000 800300D3
	ds_read_b128 v[44:47], v218 offset:4672                    // 000000006898: D9FE1240 2C0000DA
	ds_read_b128 v[48:51], v218 offset:4704                    // 0000000068A0: D9FE1260 300000DA
	s_waitcnt lgkmcnt(2)                                       // 0000000068A8: BF8CC27F
	v_mfma_f32_32x32x64_f8f6f4 v[68:83], v[36:43], v[4:11], 0  // 0000000068AC: D3AE0044 02020924
	s_add_u32 m0, s71, 0x4510                                  // 0000000068B4: 807CFF47 00004510
	buffer_load_dwordx4 v212, s[12:15], 0 offen lds            // 0000000068BC: E05D1000 800300D4
	ds_read_b128 v[20:23], v218 offset:8320                    // 0000000068C4: D9FE2080 140000DA
	ds_read_b128 v[24:27], v218 offset:8352                    // 0000000068CC: D9FE20A0 180000DA
	s_waitcnt lgkmcnt(2)                                       // 0000000068D4: BF8CC27F
	v_mfma_f32_32x32x64_f8f6f4 v[68:83], v[44:51], v[12:19], v[68:83]// 0000000068D8: D3AE0044 0512192C
	s_add_u32 m0, s71, 0x5100                                  // 0000000068E0: 807CFF47 00005100
	buffer_load_dwordx4 v211, s[12:15], 0 offen offset:64 lds  // 0000000068E8: E05D1040 800300D3
	ds_read_b128 v[28:31], v218 offset:12480                   // 0000000068F0: D9FE30C0 1C0000DA
	ds_read_b128 v[32:35], v218 offset:12512                   // 0000000068F8: D9FE30E0 200000DA
	s_waitcnt lgkmcnt(2)                                       // 000000006900: BF8CC27F
	v_mfma_f32_32x32x64_f8f6f4 v[84:99], v[20:27], v[4:11], 0  // 000000006904: D3AE0054 02020914
	s_add_u32 m0, s71, 0x5510                                  // 00000000690C: 807CFF47 00005510
	buffer_load_dwordx4 v212, s[12:15], 0 offen offset:64 lds  // 000000006914: E05D1040 800300D4
	ds_read_b128 v[36:39], v218 offset:8832                    // 00000000691C: D9FE2280 240000DA
	ds_read_b128 v[40:43], v218 offset:8864                    // 000000006924: D9FE22A0 280000DA
	s_waitcnt lgkmcnt(2)                                       // 00000000692C: BF8CC27F
	v_mfma_f32_32x32x64_f8f6f4 v[84:99], v[28:35], v[12:19], v[84:99]// 000000006930: D3AE0054 0552191C
	v_lshrrev_b32_e32 v180, 2, v207                            // 000000006938: 21699E82
	v_add_u32_e32 v207, 0x400, v207                            // 00000000693C: 699F9EFF 00000400
	ds_read_b128 v[44:47], v218 offset:12992                   // 000000006944: D9FE32C0 2C0000DA
	ds_read_b128 v[48:51], v218 offset:13024                   // 00000000694C: D9FE32E0 300000DA
	s_waitcnt lgkmcnt(2)                                       // 000000006954: BF8CC27F
	v_mfma_f32_32x32x64_f8f6f4 v[100:115], v[36:43], v[4:11], 0// 000000006958: D3AE0064 02020924
	s_barrier                                                  // 000000006960: BF8A0000
	ds_read_b64_tr_b8 v[20:21], v219                           // 000000006964: D9C40000 140000DB
	ds_read_b64_tr_b8 v[22:23], v219 offset:256                // 00000000696C: D9C40100 160000DB
	ds_read_b64_tr_b8 v[24:25], v219 offset:512                // 000000006974: D9C40200 180000DB
	ds_read_b64_tr_b8 v[26:27], v219 offset:768                // 00000000697C: D9C40300 1A0000DB
	s_waitcnt lgkmcnt(4)                                       // 000000006984: BF8CC47F
	v_mfma_f32_32x32x64_f8f6f4 v[100:115], v[44:51], v[12:19], v[100:115]// 000000006988: D3AE0064 0592192C
	ds_read_b64_tr_b8 v[28:29], v219 offset:8320               // 000000006990: D9C42080 1C0000DB
	ds_read_b64_tr_b8 v[30:31], v219 offset:8576               // 000000006998: D9C42180 1E0000DB
	ds_read_b64_tr_b8 v[32:33], v219 offset:8832               // 0000000069A0: D9C42280 200000DB
	ds_read_b64_tr_b8 v[34:35], v219 offset:9088               // 0000000069A8: D9C42380 220000DB
	s_nop 5                                                    // 0000000069B0: BF800005
	s_barrier                                                  // 0000000069B4: BF8A0000
	s_setprio 0                                                // 0000000069B8: BF8F0000
	s_barrier                                                  // 0000000069BC: BF8A0000
	v_add_u32_e32 v184, s68, v195                              // 0000000069C0: 69718644
	v_add_u32_e32 v185, 0, v184                                // 0000000069C4: 69737080
	v_cmp_lt_i32_e32 vcc, v185, v194                           // 0000000069C8: 7D8385B9
	s_nop 0                                                    // 0000000069CC: BF800000
	v_cndmask_b32_e32 v52, v197, v52, vcc                      // 0000000069D0: 006869C5
	v_add_u32_e32 v185, 1, v184                                // 0000000069D4: 69737081
	v_cmp_lt_i32_e32 vcc, v185, v194                           // 0000000069D8: 7D8385B9
	s_nop 0                                                    // 0000000069DC: BF800000
	v_cndmask_b32_e32 v53, v197, v53, vcc                      // 0000000069E0: 006A6BC5
	v_add_u32_e32 v185, 2, v184                                // 0000000069E4: 69737082
	v_cmp_lt_i32_e32 vcc, v185, v194                           // 0000000069E8: 7D8385B9
	s_nop 0                                                    // 0000000069EC: BF800000
	v_cndmask_b32_e32 v54, v197, v54, vcc                      // 0000000069F0: 006C6DC5
	v_add_u32_e32 v185, 3, v184                                // 0000000069F4: 69737083
	v_cmp_lt_i32_e32 vcc, v185, v194                           // 0000000069F8: 7D8385B9
	s_nop 0                                                    // 0000000069FC: BF800000
	v_cndmask_b32_e32 v55, v197, v55, vcc                      // 000000006A00: 006E6FC5
	v_add_u32_e32 v185, 8, v184                                // 000000006A04: 69737088
	v_cmp_lt_i32_e32 vcc, v185, v194                           // 000000006A08: 7D8385B9
	s_nop 0                                                    // 000000006A0C: BF800000
	v_cndmask_b32_e32 v56, v197, v56, vcc                      // 000000006A10: 007071C5
	v_add_u32_e32 v185, 9, v184                                // 000000006A14: 69737089
	v_cmp_lt_i32_e32 vcc, v185, v194                           // 000000006A18: 7D8385B9
	s_nop 0                                                    // 000000006A1C: BF800000
	v_cndmask_b32_e32 v57, v197, v57, vcc                      // 000000006A20: 007273C5
	v_add_u32_e32 v185, 10, v184                               // 000000006A24: 6973708A
	v_cmp_lt_i32_e32 vcc, v185, v194                           // 000000006A28: 7D8385B9
	s_nop 0                                                    // 000000006A2C: BF800000
	v_cndmask_b32_e32 v58, v197, v58, vcc                      // 000000006A30: 007475C5
	v_add_u32_e32 v185, 11, v184                               // 000000006A34: 6973708B
	v_cmp_lt_i32_e32 vcc, v185, v194                           // 000000006A38: 7D8385B9
	s_nop 0                                                    // 000000006A3C: BF800000
	v_cndmask_b32_e32 v59, v197, v59, vcc                      // 000000006A40: 007677C5
	v_add_u32_e32 v185, 16, v184                               // 000000006A44: 69737090
	v_cmp_lt_i32_e32 vcc, v185, v194                           // 000000006A48: 7D8385B9
	s_nop 0                                                    // 000000006A4C: BF800000
	v_cndmask_b32_e32 v60, v197, v60, vcc                      // 000000006A50: 007879C5
	v_add_u32_e32 v185, 17, v184                               // 000000006A54: 69737091
	v_cmp_lt_i32_e32 vcc, v185, v194                           // 000000006A58: 7D8385B9
	s_nop 0                                                    // 000000006A5C: BF800000
	v_cndmask_b32_e32 v61, v197, v61, vcc                      // 000000006A60: 007A7BC5
	v_add_u32_e32 v185, 18, v184                               // 000000006A64: 69737092
	v_cmp_lt_i32_e32 vcc, v185, v194                           // 000000006A68: 7D8385B9
	s_nop 0                                                    // 000000006A6C: BF800000
	v_cndmask_b32_e32 v62, v197, v62, vcc                      // 000000006A70: 007C7DC5
	v_add_u32_e32 v185, 19, v184                               // 000000006A74: 69737093
	v_cmp_lt_i32_e32 vcc, v185, v194                           // 000000006A78: 7D8385B9
	s_nop 0                                                    // 000000006A7C: BF800000
	v_cndmask_b32_e32 v63, v197, v63, vcc                      // 000000006A80: 007E7FC5
	v_add_u32_e32 v185, 24, v184                               // 000000006A84: 69737098
	v_cmp_lt_i32_e32 vcc, v185, v194                           // 000000006A88: 7D8385B9
	s_nop 0                                                    // 000000006A8C: BF800000
	v_cndmask_b32_e32 v64, v197, v64, vcc                      // 000000006A90: 008081C5
	v_add_u32_e32 v185, 25, v184                               // 000000006A94: 69737099
	v_cmp_lt_i32_e32 vcc, v185, v194                           // 000000006A98: 7D8385B9
	s_nop 0                                                    // 000000006A9C: BF800000
	v_cndmask_b32_e32 v65, v197, v65, vcc                      // 000000006AA0: 008283C5
	v_add_u32_e32 v185, 26, v184                               // 000000006AA4: 6973709A
	v_cmp_lt_i32_e32 vcc, v185, v194                           // 000000006AA8: 7D8385B9
	s_nop 0                                                    // 000000006AAC: BF800000
	v_cndmask_b32_e32 v66, v197, v66, vcc                      // 000000006AB0: 008485C5
	v_add_u32_e32 v185, 27, v184                               // 000000006AB4: 6973709B
	v_cmp_lt_i32_e32 vcc, v185, v194                           // 000000006AB8: 7D8385B9
	s_nop 0                                                    // 000000006ABC: BF800000
	v_cndmask_b32_e32 v67, v197, v67, vcc                      // 000000006AC0: 008687C5
	v_add_u32_e32 v185, 32, v184                               // 000000006AC4: 697370A0
	v_cmp_lt_i32_e32 vcc, v185, v194                           // 000000006AC8: 7D8385B9
	s_nop 0                                                    // 000000006ACC: BF800000
	v_cndmask_b32_e32 v68, v197, v68, vcc                      // 000000006AD0: 008889C5
	v_add_u32_e32 v185, 33, v184                               // 000000006AD4: 697370A1
	v_cmp_lt_i32_e32 vcc, v185, v194                           // 000000006AD8: 7D8385B9
	s_nop 0                                                    // 000000006ADC: BF800000
	v_cndmask_b32_e32 v69, v197, v69, vcc                      // 000000006AE0: 008A8BC5
	v_add_u32_e32 v185, 34, v184                               // 000000006AE4: 697370A2
	v_cmp_lt_i32_e32 vcc, v185, v194                           // 000000006AE8: 7D8385B9
	s_nop 0                                                    // 000000006AEC: BF800000
	v_cndmask_b32_e32 v70, v197, v70, vcc                      // 000000006AF0: 008C8DC5
	v_add_u32_e32 v185, 35, v184                               // 000000006AF4: 697370A3
	v_cmp_lt_i32_e32 vcc, v185, v194                           // 000000006AF8: 7D8385B9
	s_nop 0                                                    // 000000006AFC: BF800000
	v_cndmask_b32_e32 v71, v197, v71, vcc                      // 000000006B00: 008E8FC5
	v_add_u32_e32 v185, 40, v184                               // 000000006B04: 697370A8
	v_cmp_lt_i32_e32 vcc, v185, v194                           // 000000006B08: 7D8385B9
	s_nop 0                                                    // 000000006B0C: BF800000
	v_cndmask_b32_e32 v72, v197, v72, vcc                      // 000000006B10: 009091C5
	v_add_u32_e32 v185, 41, v184                               // 000000006B14: 697370A9
	v_cmp_lt_i32_e32 vcc, v185, v194                           // 000000006B18: 7D8385B9
	s_nop 0                                                    // 000000006B1C: BF800000
	v_cndmask_b32_e32 v73, v197, v73, vcc                      // 000000006B20: 009293C5
	v_add_u32_e32 v185, 42, v184                               // 000000006B24: 697370AA
	v_cmp_lt_i32_e32 vcc, v185, v194                           // 000000006B28: 7D8385B9
	s_nop 0                                                    // 000000006B2C: BF800000
	v_cndmask_b32_e32 v74, v197, v74, vcc                      // 000000006B30: 009495C5
	v_add_u32_e32 v185, 43, v184                               // 000000006B34: 697370AB
	v_cmp_lt_i32_e32 vcc, v185, v194                           // 000000006B38: 7D8385B9
	s_nop 0                                                    // 000000006B3C: BF800000
	v_cndmask_b32_e32 v75, v197, v75, vcc                      // 000000006B40: 009697C5
	v_add_u32_e32 v185, 48, v184                               // 000000006B44: 697370B0
	v_cmp_lt_i32_e32 vcc, v185, v194                           // 000000006B48: 7D8385B9
	s_nop 0                                                    // 000000006B4C: BF800000
	v_cndmask_b32_e32 v76, v197, v76, vcc                      // 000000006B50: 009899C5
	v_add_u32_e32 v185, 49, v184                               // 000000006B54: 697370B1
	v_cmp_lt_i32_e32 vcc, v185, v194                           // 000000006B58: 7D8385B9
	s_nop 0                                                    // 000000006B5C: BF800000
	v_cndmask_b32_e32 v77, v197, v77, vcc                      // 000000006B60: 009A9BC5
	v_add_u32_e32 v185, 50, v184                               // 000000006B64: 697370B2
	v_cmp_lt_i32_e32 vcc, v185, v194                           // 000000006B68: 7D8385B9
	s_nop 0                                                    // 000000006B6C: BF800000
	v_cndmask_b32_e32 v78, v197, v78, vcc                      // 000000006B70: 009C9DC5
	v_add_u32_e32 v185, 51, v184                               // 000000006B74: 697370B3
	v_cmp_lt_i32_e32 vcc, v185, v194                           // 000000006B78: 7D8385B9
	s_nop 0                                                    // 000000006B7C: BF800000
	v_cndmask_b32_e32 v79, v197, v79, vcc                      // 000000006B80: 009E9FC5
	v_add_u32_e32 v185, 56, v184                               // 000000006B84: 697370B8
	v_cmp_lt_i32_e32 vcc, v185, v194                           // 000000006B88: 7D8385B9
	s_nop 0                                                    // 000000006B8C: BF800000
	v_cndmask_b32_e32 v80, v197, v80, vcc                      // 000000006B90: 00A0A1C5
	v_add_u32_e32 v185, 57, v184                               // 000000006B94: 697370B9
	v_cmp_lt_i32_e32 vcc, v185, v194                           // 000000006B98: 7D8385B9
	s_nop 0                                                    // 000000006B9C: BF800000
	v_cndmask_b32_e32 v81, v197, v81, vcc                      // 000000006BA0: 00A2A3C5
	v_add_u32_e32 v185, 58, v184                               // 000000006BA4: 697370BA
	v_cmp_lt_i32_e32 vcc, v185, v194                           // 000000006BA8: 7D8385B9
	s_nop 0                                                    // 000000006BAC: BF800000
	v_cndmask_b32_e32 v82, v197, v82, vcc                      // 000000006BB0: 00A4A5C5
	v_add_u32_e32 v185, 59, v184                               // 000000006BB4: 697370BB
	v_cmp_lt_i32_e32 vcc, v185, v194                           // 000000006BB8: 7D8385B9
	s_nop 0                                                    // 000000006BBC: BF800000
	v_cndmask_b32_e32 v83, v197, v83, vcc                      // 000000006BC0: 00A6A7C5
	v_add_u32_e32 v185, 64, v184                               // 000000006BC4: 697370C0
	v_cmp_lt_i32_e32 vcc, v185, v194                           // 000000006BC8: 7D8385B9
	s_nop 0                                                    // 000000006BCC: BF800000
	v_cndmask_b32_e32 v84, v197, v84, vcc                      // 000000006BD0: 00A8A9C5
	v_add_u32_e32 v185, 0x41, v184                             // 000000006BD4: 697370FF 00000041
	v_cmp_lt_i32_e32 vcc, v185, v194                           // 000000006BDC: 7D8385B9
	s_nop 0                                                    // 000000006BE0: BF800000
	v_cndmask_b32_e32 v85, v197, v85, vcc                      // 000000006BE4: 00AAABC5
	v_add_u32_e32 v185, 0x42, v184                             // 000000006BE8: 697370FF 00000042
	v_cmp_lt_i32_e32 vcc, v185, v194                           // 000000006BF0: 7D8385B9
	s_nop 0                                                    // 000000006BF4: BF800000
	v_cndmask_b32_e32 v86, v197, v86, vcc                      // 000000006BF8: 00ACADC5
	v_add_u32_e32 v185, 0x43, v184                             // 000000006BFC: 697370FF 00000043
	v_cmp_lt_i32_e32 vcc, v185, v194                           // 000000006C04: 7D8385B9
	s_nop 0                                                    // 000000006C08: BF800000
	v_cndmask_b32_e32 v87, v197, v87, vcc                      // 000000006C0C: 00AEAFC5
	v_add_u32_e32 v185, 0x48, v184                             // 000000006C10: 697370FF 00000048
	v_cmp_lt_i32_e32 vcc, v185, v194                           // 000000006C18: 7D8385B9
	s_nop 0                                                    // 000000006C1C: BF800000
	v_cndmask_b32_e32 v88, v197, v88, vcc                      // 000000006C20: 00B0B1C5
	v_add_u32_e32 v185, 0x49, v184                             // 000000006C24: 697370FF 00000049
	v_cmp_lt_i32_e32 vcc, v185, v194                           // 000000006C2C: 7D8385B9
	s_nop 0                                                    // 000000006C30: BF800000
	v_cndmask_b32_e32 v89, v197, v89, vcc                      // 000000006C34: 00B2B3C5
	v_add_u32_e32 v185, 0x4a, v184                             // 000000006C38: 697370FF 0000004A
	v_cmp_lt_i32_e32 vcc, v185, v194                           // 000000006C40: 7D8385B9
	s_nop 0                                                    // 000000006C44: BF800000
	v_cndmask_b32_e32 v90, v197, v90, vcc                      // 000000006C48: 00B4B5C5
	v_add_u32_e32 v185, 0x4b, v184                             // 000000006C4C: 697370FF 0000004B
	v_cmp_lt_i32_e32 vcc, v185, v194                           // 000000006C54: 7D8385B9
	s_nop 0                                                    // 000000006C58: BF800000
	v_cndmask_b32_e32 v91, v197, v91, vcc                      // 000000006C5C: 00B6B7C5
	v_add_u32_e32 v185, 0x50, v184                             // 000000006C60: 697370FF 00000050
	v_cmp_lt_i32_e32 vcc, v185, v194                           // 000000006C68: 7D8385B9
	s_nop 0                                                    // 000000006C6C: BF800000
	v_cndmask_b32_e32 v92, v197, v92, vcc                      // 000000006C70: 00B8B9C5
	v_add_u32_e32 v185, 0x51, v184                             // 000000006C74: 697370FF 00000051
	v_cmp_lt_i32_e32 vcc, v185, v194                           // 000000006C7C: 7D8385B9
	s_nop 0                                                    // 000000006C80: BF800000
	v_cndmask_b32_e32 v93, v197, v93, vcc                      // 000000006C84: 00BABBC5
	v_add_u32_e32 v185, 0x52, v184                             // 000000006C88: 697370FF 00000052
	v_cmp_lt_i32_e32 vcc, v185, v194                           // 000000006C90: 7D8385B9
	s_nop 0                                                    // 000000006C94: BF800000
	v_cndmask_b32_e32 v94, v197, v94, vcc                      // 000000006C98: 00BCBDC5
	v_add_u32_e32 v185, 0x53, v184                             // 000000006C9C: 697370FF 00000053
	v_cmp_lt_i32_e32 vcc, v185, v194                           // 000000006CA4: 7D8385B9
	s_nop 0                                                    // 000000006CA8: BF800000
	v_cndmask_b32_e32 v95, v197, v95, vcc                      // 000000006CAC: 00BEBFC5
	v_add_u32_e32 v185, 0x58, v184                             // 000000006CB0: 697370FF 00000058
	v_cmp_lt_i32_e32 vcc, v185, v194                           // 000000006CB8: 7D8385B9
	s_nop 0                                                    // 000000006CBC: BF800000
	v_cndmask_b32_e32 v96, v197, v96, vcc                      // 000000006CC0: 00C0C1C5
	v_add_u32_e32 v185, 0x59, v184                             // 000000006CC4: 697370FF 00000059
	v_cmp_lt_i32_e32 vcc, v185, v194                           // 000000006CCC: 7D8385B9
	s_nop 0                                                    // 000000006CD0: BF800000
	v_cndmask_b32_e32 v97, v197, v97, vcc                      // 000000006CD4: 00C2C3C5
	v_add_u32_e32 v185, 0x5a, v184                             // 000000006CD8: 697370FF 0000005A
	v_cmp_lt_i32_e32 vcc, v185, v194                           // 000000006CE0: 7D8385B9
	s_nop 0                                                    // 000000006CE4: BF800000
	v_cndmask_b32_e32 v98, v197, v98, vcc                      // 000000006CE8: 00C4C5C5
	v_add_u32_e32 v185, 0x5b, v184                             // 000000006CEC: 697370FF 0000005B
	v_cmp_lt_i32_e32 vcc, v185, v194                           // 000000006CF4: 7D8385B9
	s_nop 0                                                    // 000000006CF8: BF800000
	v_cndmask_b32_e32 v99, v197, v99, vcc                      // 000000006CFC: 00C6C7C5
	v_add_u32_e32 v185, 0x60, v184                             // 000000006D00: 697370FF 00000060
	v_cmp_lt_i32_e32 vcc, v185, v194                           // 000000006D08: 7D8385B9
	s_nop 0                                                    // 000000006D0C: BF800000
	v_cndmask_b32_e32 v100, v197, v100, vcc                    // 000000006D10: 00C8C9C5
	v_add_u32_e32 v185, 0x61, v184                             // 000000006D14: 697370FF 00000061
	v_cmp_lt_i32_e32 vcc, v185, v194                           // 000000006D1C: 7D8385B9
	s_nop 0                                                    // 000000006D20: BF800000
	v_cndmask_b32_e32 v101, v197, v101, vcc                    // 000000006D24: 00CACBC5
	v_add_u32_e32 v185, 0x62, v184                             // 000000006D28: 697370FF 00000062
	v_cmp_lt_i32_e32 vcc, v185, v194                           // 000000006D30: 7D8385B9
	s_nop 0                                                    // 000000006D34: BF800000
	v_cndmask_b32_e32 v102, v197, v102, vcc                    // 000000006D38: 00CCCDC5
	v_add_u32_e32 v185, 0x63, v184                             // 000000006D3C: 697370FF 00000063
	v_cmp_lt_i32_e32 vcc, v185, v194                           // 000000006D44: 7D8385B9
	s_nop 0                                                    // 000000006D48: BF800000
	v_cndmask_b32_e32 v103, v197, v103, vcc                    // 000000006D4C: 00CECFC5
	v_add_u32_e32 v185, 0x68, v184                             // 000000006D50: 697370FF 00000068
	v_cmp_lt_i32_e32 vcc, v185, v194                           // 000000006D58: 7D8385B9
	s_nop 0                                                    // 000000006D5C: BF800000
	v_cndmask_b32_e32 v104, v197, v104, vcc                    // 000000006D60: 00D0D1C5
	v_add_u32_e32 v185, 0x69, v184                             // 000000006D64: 697370FF 00000069
	v_cmp_lt_i32_e32 vcc, v185, v194                           // 000000006D6C: 7D8385B9
	s_nop 0                                                    // 000000006D70: BF800000
	v_cndmask_b32_e32 v105, v197, v105, vcc                    // 000000006D74: 00D2D3C5
	v_add_u32_e32 v185, 0x6a, v184                             // 000000006D78: 697370FF 0000006A
	v_cmp_lt_i32_e32 vcc, v185, v194                           // 000000006D80: 7D8385B9
	s_nop 0                                                    // 000000006D84: BF800000
	v_cndmask_b32_e32 v106, v197, v106, vcc                    // 000000006D88: 00D4D5C5
	v_add_u32_e32 v185, 0x6b, v184                             // 000000006D8C: 697370FF 0000006B
	v_cmp_lt_i32_e32 vcc, v185, v194                           // 000000006D94: 7D8385B9
	s_nop 0                                                    // 000000006D98: BF800000
	v_cndmask_b32_e32 v107, v197, v107, vcc                    // 000000006D9C: 00D6D7C5
	v_add_u32_e32 v185, 0x70, v184                             // 000000006DA0: 697370FF 00000070
	v_cmp_lt_i32_e32 vcc, v185, v194                           // 000000006DA8: 7D8385B9
	s_nop 0                                                    // 000000006DAC: BF800000
	v_cndmask_b32_e32 v108, v197, v108, vcc                    // 000000006DB0: 00D8D9C5
	v_add_u32_e32 v185, 0x71, v184                             // 000000006DB4: 697370FF 00000071
	v_cmp_lt_i32_e32 vcc, v185, v194                           // 000000006DBC: 7D8385B9
	s_nop 0                                                    // 000000006DC0: BF800000
	v_cndmask_b32_e32 v109, v197, v109, vcc                    // 000000006DC4: 00DADBC5
	v_add_u32_e32 v185, 0x72, v184                             // 000000006DC8: 697370FF 00000072
	v_cmp_lt_i32_e32 vcc, v185, v194                           // 000000006DD0: 7D8385B9
	s_nop 0                                                    // 000000006DD4: BF800000
	v_cndmask_b32_e32 v110, v197, v110, vcc                    // 000000006DD8: 00DCDDC5
	v_add_u32_e32 v185, 0x73, v184                             // 000000006DDC: 697370FF 00000073
	v_cmp_lt_i32_e32 vcc, v185, v194                           // 000000006DE4: 7D8385B9
	s_nop 0                                                    // 000000006DE8: BF800000
	v_cndmask_b32_e32 v111, v197, v111, vcc                    // 000000006DEC: 00DEDFC5
	v_add_u32_e32 v185, 0x78, v184                             // 000000006DF0: 697370FF 00000078
	v_cmp_lt_i32_e32 vcc, v185, v194                           // 000000006DF8: 7D8385B9
	s_nop 0                                                    // 000000006DFC: BF800000
	v_cndmask_b32_e32 v112, v197, v112, vcc                    // 000000006E00: 00E0E1C5
	v_add_u32_e32 v185, 0x79, v184                             // 000000006E04: 697370FF 00000079
	v_cmp_lt_i32_e32 vcc, v185, v194                           // 000000006E0C: 7D8385B9
	s_nop 0                                                    // 000000006E10: BF800000
	v_cndmask_b32_e32 v113, v197, v113, vcc                    // 000000006E14: 00E2E3C5
	v_add_u32_e32 v185, 0x7a, v184                             // 000000006E18: 697370FF 0000007A
	v_cmp_lt_i32_e32 vcc, v185, v194                           // 000000006E20: 7D8385B9
	s_nop 0                                                    // 000000006E24: BF800000
	v_cndmask_b32_e32 v114, v197, v114, vcc                    // 000000006E28: 00E4E5C5
	v_add_u32_e32 v185, 0x7b, v184                             // 000000006E2C: 697370FF 0000007B
	v_cmp_lt_i32_e32 vcc, v185, v194                           // 000000006E34: 7D8385B9
	s_nop 0                                                    // 000000006E38: BF800000
	v_cndmask_b32_e32 v115, v197, v115, vcc                    // 000000006E3C: 00E6E7C5
	v_mov_b32_e32 v193, v192                                   // 000000006E40: 7F8203C0
	v_max3_f32 v193, v52, v53, v193                            // 000000006E44: D1D300C1 07066B34
	v_max3_f32 v193, v54, v55, v193                            // 000000006E4C: D1D300C1 07066F36
	v_max3_f32 v193, v56, v57, v193                            // 000000006E54: D1D300C1 07067338
	v_max3_f32 v193, v58, v59, v193                            // 000000006E5C: D1D300C1 0706773A
	v_max3_f32 v193, v60, v61, v193                            // 000000006E64: D1D300C1 07067B3C
	v_max3_f32 v193, v62, v63, v193                            // 000000006E6C: D1D300C1 07067F3E
	v_max3_f32 v193, v64, v65, v193                            // 000000006E74: D1D300C1 07068340
	v_max3_f32 v193, v66, v67, v193                            // 000000006E7C: D1D300C1 07068742
	v_max3_f32 v193, v68, v69, v193                            // 000000006E84: D1D300C1 07068B44
	v_max3_f32 v193, v70, v71, v193                            // 000000006E8C: D1D300C1 07068F46
	v_max3_f32 v193, v72, v73, v193                            // 000000006E94: D1D300C1 07069348
	v_max3_f32 v193, v74, v75, v193                            // 000000006E9C: D1D300C1 0706974A
	v_max3_f32 v193, v76, v77, v193                            // 000000006EA4: D1D300C1 07069B4C
	v_max3_f32 v193, v78, v79, v193                            // 000000006EAC: D1D300C1 07069F4E
	v_max3_f32 v193, v80, v81, v193                            // 000000006EB4: D1D300C1 0706A350
	v_max3_f32 v193, v82, v83, v193                            // 000000006EBC: D1D300C1 0706A752
	v_max3_f32 v193, v84, v85, v193                            // 000000006EC4: D1D300C1 0706AB54
	v_max3_f32 v193, v86, v87, v193                            // 000000006ECC: D1D300C1 0706AF56
	v_max3_f32 v193, v88, v89, v193                            // 000000006ED4: D1D300C1 0706B358
	v_max3_f32 v193, v90, v91, v193                            // 000000006EDC: D1D300C1 0706B75A
	v_max3_f32 v193, v92, v93, v193                            // 000000006EE4: D1D300C1 0706BB5C
	v_max3_f32 v193, v94, v95, v193                            // 000000006EEC: D1D300C1 0706BF5E
	v_max3_f32 v193, v96, v97, v193                            // 000000006EF4: D1D300C1 0706C360
	v_max3_f32 v193, v98, v99, v193                            // 000000006EFC: D1D300C1 0706C762
	v_max3_f32 v193, v100, v101, v193                          // 000000006F04: D1D300C1 0706CB64
	v_max3_f32 v193, v102, v103, v193                          // 000000006F0C: D1D300C1 0706CF66
	v_max3_f32 v193, v104, v105, v193                          // 000000006F14: D1D300C1 0706D368
	v_max3_f32 v193, v106, v107, v193                          // 000000006F1C: D1D300C1 0706D76A
	v_max3_f32 v193, v108, v109, v193                          // 000000006F24: D1D300C1 0706DB6C
	v_max3_f32 v193, v110, v111, v193                          // 000000006F2C: D1D300C1 0706DF6E
	v_max3_f32 v193, v112, v113, v193                          // 000000006F34: D1D300C1 0706E370
	v_max3_f32 v193, v114, v115, v193                          // 000000006F3C: D1D300C1 0706E772
	v_mov_b32_e32 v184, v193                                   // 000000006F44: 7F7003C1
	s_nop 1                                                    // 000000006F48: BF800001
	s_nop 0                                                    // 000000006F4C: BF800000
	v_permlane32_swap_b32_e32 v184, v193                       // 000000006F50: 7F70B5C1
	v_max_f32_e32 v193, v193, v184                             // 000000006F54: 178371C1
	v_cmp_eq_u32_e64 s[66:67], v197, v193                      // 000000006F58: D0CA0042 000383C5
	s_nop 0                                                    // 000000006F60: BF800000
	v_cndmask_b32_e64 v193, v193, 0, s[66:67]                  // 000000006F64: D10000C1 010901C1
	v_mul_f32_e64 v184, -s26, v193                             // 000000006F6C: D10500B8 2003821A
	v_mov_b32_e32 v185, v184                                   // 000000006F74: 7F7203B8
	v_pk_fma_f32 v[52:53], v[52:53], s[26:27], v[184:185]      // 000000006F78: D3B04034 1EE03534
	v_pk_fma_f32 v[54:55], v[54:55], s[26:27], v[184:185]      // 000000006F80: D3B04036 1EE03536
	v_pk_fma_f32 v[56:57], v[56:57], s[26:27], v[184:185]      // 000000006F88: D3B04038 1EE03538
	v_pk_fma_f32 v[58:59], v[58:59], s[26:27], v[184:185]      // 000000006F90: D3B0403A 1EE0353A
	v_pk_fma_f32 v[60:61], v[60:61], s[26:27], v[184:185]      // 000000006F98: D3B0403C 1EE0353C
	v_pk_fma_f32 v[62:63], v[62:63], s[26:27], v[184:185]      // 000000006FA0: D3B0403E 1EE0353E
	v_pk_fma_f32 v[64:65], v[64:65], s[26:27], v[184:185]      // 000000006FA8: D3B04040 1EE03540
	v_pk_fma_f32 v[66:67], v[66:67], s[26:27], v[184:185]      // 000000006FB0: D3B04042 1EE03542
	v_pk_fma_f32 v[68:69], v[68:69], s[26:27], v[184:185]      // 000000006FB8: D3B04044 1EE03544
	v_pk_fma_f32 v[70:71], v[70:71], s[26:27], v[184:185]      // 000000006FC0: D3B04046 1EE03546
	v_pk_fma_f32 v[72:73], v[72:73], s[26:27], v[184:185]      // 000000006FC8: D3B04048 1EE03548
	v_pk_fma_f32 v[74:75], v[74:75], s[26:27], v[184:185]      // 000000006FD0: D3B0404A 1EE0354A
	v_pk_fma_f32 v[76:77], v[76:77], s[26:27], v[184:185]      // 000000006FD8: D3B0404C 1EE0354C
	v_pk_fma_f32 v[78:79], v[78:79], s[26:27], v[184:185]      // 000000006FE0: D3B0404E 1EE0354E
	v_pk_fma_f32 v[80:81], v[80:81], s[26:27], v[184:185]      // 000000006FE8: D3B04050 1EE03550
	v_pk_fma_f32 v[82:83], v[82:83], s[26:27], v[184:185]      // 000000006FF0: D3B04052 1EE03552
	v_pk_fma_f32 v[84:85], v[84:85], s[26:27], v[184:185]      // 000000006FF8: D3B04054 1EE03554
	v_pk_fma_f32 v[86:87], v[86:87], s[26:27], v[184:185]      // 000000007000: D3B04056 1EE03556
	v_pk_fma_f32 v[88:89], v[88:89], s[26:27], v[184:185]      // 000000007008: D3B04058 1EE03558
	v_pk_fma_f32 v[90:91], v[90:91], s[26:27], v[184:185]      // 000000007010: D3B0405A 1EE0355A
	v_pk_fma_f32 v[92:93], v[92:93], s[26:27], v[184:185]      // 000000007018: D3B0405C 1EE0355C
	v_pk_fma_f32 v[94:95], v[94:95], s[26:27], v[184:185]      // 000000007020: D3B0405E 1EE0355E
	v_pk_fma_f32 v[96:97], v[96:97], s[26:27], v[184:185]      // 000000007028: D3B04060 1EE03560
	v_pk_fma_f32 v[98:99], v[98:99], s[26:27], v[184:185]      // 000000007030: D3B04062 1EE03562
	v_pk_fma_f32 v[100:101], v[100:101], s[26:27], v[184:185]  // 000000007038: D3B04064 1EE03564
	v_pk_fma_f32 v[102:103], v[102:103], s[26:27], v[184:185]  // 000000007040: D3B04066 1EE03566
	v_pk_fma_f32 v[104:105], v[104:105], s[26:27], v[184:185]  // 000000007048: D3B04068 1EE03568
	v_pk_fma_f32 v[106:107], v[106:107], s[26:27], v[184:185]  // 000000007050: D3B0406A 1EE0356A
	v_pk_fma_f32 v[108:109], v[108:109], s[26:27], v[184:185]  // 000000007058: D3B0406C 1EE0356C
	v_pk_fma_f32 v[110:111], v[110:111], s[26:27], v[184:185]  // 000000007060: D3B0406E 1EE0356E
	v_pk_fma_f32 v[112:113], v[112:113], s[26:27], v[184:185]  // 000000007068: D3B04070 1EE03570
	v_pk_fma_f32 v[114:115], v[114:115], s[26:27], v[184:185]  // 000000007070: D3B04072 1EE03572
	s_barrier                                                  // 000000007078: BF8A0000
	v_exp_f32_e32 v52, v52                                     // 00000000707C: 7E684134
	v_exp_f32_e32 v53, v53                                     // 000000007080: 7E6A4135
	v_exp_f32_e32 v54, v54                                     // 000000007084: 7E6C4136
	v_exp_f32_e32 v55, v55                                     // 000000007088: 7E6E4137
	v_exp_f32_e32 v56, v56                                     // 00000000708C: 7E704138
	v_exp_f32_e32 v57, v57                                     // 000000007090: 7E724139
	v_exp_f32_e32 v58, v58                                     // 000000007094: 7E74413A
	v_exp_f32_e32 v59, v59                                     // 000000007098: 7E76413B
	v_exp_f32_e32 v60, v60                                     // 00000000709C: 7E78413C
	v_exp_f32_e32 v61, v61                                     // 0000000070A0: 7E7A413D
	v_exp_f32_e32 v62, v62                                     // 0000000070A4: 7E7C413E
	v_exp_f32_e32 v63, v63                                     // 0000000070A8: 7E7E413F
	v_exp_f32_e32 v64, v64                                     // 0000000070AC: 7E804140
	v_exp_f32_e32 v65, v65                                     // 0000000070B0: 7E824141
	v_exp_f32_e32 v66, v66                                     // 0000000070B4: 7E844142
	v_exp_f32_e32 v67, v67                                     // 0000000070B8: 7E864143
	v_exp_f32_e32 v68, v68                                     // 0000000070BC: 7E884144
	v_exp_f32_e32 v69, v69                                     // 0000000070C0: 7E8A4145
	v_exp_f32_e32 v70, v70                                     // 0000000070C4: 7E8C4146
	v_exp_f32_e32 v71, v71                                     // 0000000070C8: 7E8E4147
	v_exp_f32_e32 v72, v72                                     // 0000000070CC: 7E904148
	v_exp_f32_e32 v73, v73                                     // 0000000070D0: 7E924149
	v_exp_f32_e32 v74, v74                                     // 0000000070D4: 7E94414A
	v_exp_f32_e32 v75, v75                                     // 0000000070D8: 7E96414B
	v_exp_f32_e32 v76, v76                                     // 0000000070DC: 7E98414C
	v_exp_f32_e32 v77, v77                                     // 0000000070E0: 7E9A414D
	v_exp_f32_e32 v78, v78                                     // 0000000070E4: 7E9C414E
	v_exp_f32_e32 v79, v79                                     // 0000000070E8: 7E9E414F
	v_exp_f32_e32 v80, v80                                     // 0000000070EC: 7EA04150
	v_exp_f32_e32 v81, v81                                     // 0000000070F0: 7EA24151
	v_exp_f32_e32 v82, v82                                     // 0000000070F4: 7EA44152
	v_exp_f32_e32 v83, v83                                     // 0000000070F8: 7EA64153
	v_exp_f32_e32 v84, v84                                     // 0000000070FC: 7EA84154
	v_exp_f32_e32 v85, v85                                     // 000000007100: 7EAA4155
	v_exp_f32_e32 v86, v86                                     // 000000007104: 7EAC4156
	v_exp_f32_e32 v87, v87                                     // 000000007108: 7EAE4157
	v_exp_f32_e32 v88, v88                                     // 00000000710C: 7EB04158
	v_exp_f32_e32 v89, v89                                     // 000000007110: 7EB24159
	v_exp_f32_e32 v90, v90                                     // 000000007114: 7EB4415A
	v_exp_f32_e32 v91, v91                                     // 000000007118: 7EB6415B
	v_exp_f32_e32 v92, v92                                     // 00000000711C: 7EB8415C
	v_exp_f32_e32 v93, v93                                     // 000000007120: 7EBA415D
	v_exp_f32_e32 v94, v94                                     // 000000007124: 7EBC415E
	v_exp_f32_e32 v95, v95                                     // 000000007128: 7EBE415F
	v_exp_f32_e32 v96, v96                                     // 00000000712C: 7EC04160
	v_exp_f32_e32 v97, v97                                     // 000000007130: 7EC24161
	v_exp_f32_e32 v98, v98                                     // 000000007134: 7EC44162
	v_exp_f32_e32 v99, v99                                     // 000000007138: 7EC64163
	v_exp_f32_e32 v100, v100                                   // 00000000713C: 7EC84164
	v_exp_f32_e32 v101, v101                                   // 000000007140: 7ECA4165
	v_exp_f32_e32 v102, v102                                   // 000000007144: 7ECC4166
	v_exp_f32_e32 v103, v103                                   // 000000007148: 7ECE4167
	v_exp_f32_e32 v104, v104                                   // 00000000714C: 7ED04168
	v_exp_f32_e32 v105, v105                                   // 000000007150: 7ED24169
	v_exp_f32_e32 v106, v106                                   // 000000007154: 7ED4416A
	v_exp_f32_e32 v107, v107                                   // 000000007158: 7ED6416B
	v_exp_f32_e32 v108, v108                                   // 00000000715C: 7ED8416C
	v_exp_f32_e32 v109, v109                                   // 000000007160: 7EDA416D
	v_exp_f32_e32 v110, v110                                   // 000000007164: 7EDC416E
	v_exp_f32_e32 v111, v111                                   // 000000007168: 7EDE416F
	v_exp_f32_e32 v112, v112                                   // 00000000716C: 7EE04170
	v_exp_f32_e32 v113, v113                                   // 000000007170: 7EE24171
	v_exp_f32_e32 v114, v114                                   // 000000007174: 7EE44172
	v_exp_f32_e32 v115, v115                                   // 000000007178: 7EE64173
	v_sub_f32_e32 v188, v192, v193                             // 00000000717C: 057983C0
	v_cmp_eq_u32_e64 s[66:67], v197, v192                      // 000000007180: D0CA0042 000381C5
	s_nop 0                                                    // 000000007188: BF800000
	v_cndmask_b32_e64 v188, v188, 0, s[66:67]                  // 00000000718C: D10000BC 010901BC
	v_mov_b32_e32 v192, v193                                   // 000000007194: 7F8003C1
	v_mul_f32_e32 v188, s26, v188                              // 000000007198: 0B79781A
	v_exp_f32_e32 v188, v188                                   // 00000000719C: 7F7841BC
	s_nop 0                                                    // 0000000071A0: BF800000
	v_mul_f32_e32 v190, v188, v190                             // 0000000071A4: 0B7D7DBC
	v_add_f32_e32 v190, v52, v190                              // 0000000071A8: 037D7D34
	v_add_f32_e32 v190, v53, v190                              // 0000000071AC: 037D7D35
	v_add_f32_e32 v190, v54, v190                              // 0000000071B0: 037D7D36
	v_add_f32_e32 v190, v55, v190                              // 0000000071B4: 037D7D37
	v_add_f32_e32 v190, v56, v190                              // 0000000071B8: 037D7D38
	v_add_f32_e32 v190, v57, v190                              // 0000000071BC: 037D7D39
	v_add_f32_e32 v190, v58, v190                              // 0000000071C0: 037D7D3A
	v_add_f32_e32 v190, v59, v190                              // 0000000071C4: 037D7D3B
	v_add_f32_e32 v190, v60, v190                              // 0000000071C8: 037D7D3C
	v_add_f32_e32 v190, v61, v190                              // 0000000071CC: 037D7D3D
	v_add_f32_e32 v190, v62, v190                              // 0000000071D0: 037D7D3E
	v_add_f32_e32 v190, v63, v190                              // 0000000071D4: 037D7D3F
	v_add_f32_e32 v190, v64, v190                              // 0000000071D8: 037D7D40
	v_add_f32_e32 v190, v65, v190                              // 0000000071DC: 037D7D41
	v_add_f32_e32 v190, v66, v190                              // 0000000071E0: 037D7D42
	v_add_f32_e32 v190, v67, v190                              // 0000000071E4: 037D7D43
	v_add_f32_e32 v190, v68, v190                              // 0000000071E8: 037D7D44
	v_add_f32_e32 v190, v69, v190                              // 0000000071EC: 037D7D45
	v_add_f32_e32 v190, v70, v190                              // 0000000071F0: 037D7D46
	v_add_f32_e32 v190, v71, v190                              // 0000000071F4: 037D7D47
	v_add_f32_e32 v190, v72, v190                              // 0000000071F8: 037D7D48
	v_add_f32_e32 v190, v73, v190                              // 0000000071FC: 037D7D49
	v_add_f32_e32 v190, v74, v190                              // 000000007200: 037D7D4A
	v_add_f32_e32 v190, v75, v190                              // 000000007204: 037D7D4B
	v_add_f32_e32 v190, v76, v190                              // 000000007208: 037D7D4C
	v_add_f32_e32 v190, v77, v190                              // 00000000720C: 037D7D4D
	v_add_f32_e32 v190, v78, v190                              // 000000007210: 037D7D4E
	v_add_f32_e32 v190, v79, v190                              // 000000007214: 037D7D4F
	v_add_f32_e32 v190, v80, v190                              // 000000007218: 037D7D50
	v_add_f32_e32 v190, v81, v190                              // 00000000721C: 037D7D51
	v_add_f32_e32 v190, v82, v190                              // 000000007220: 037D7D52
	v_add_f32_e32 v190, v83, v190                              // 000000007224: 037D7D53
	v_add_f32_e32 v190, v84, v190                              // 000000007228: 037D7D54
	v_add_f32_e32 v190, v85, v190                              // 00000000722C: 037D7D55
	v_add_f32_e32 v190, v86, v190                              // 000000007230: 037D7D56
	v_add_f32_e32 v190, v87, v190                              // 000000007234: 037D7D57
	v_add_f32_e32 v190, v88, v190                              // 000000007238: 037D7D58
	v_add_f32_e32 v190, v89, v190                              // 00000000723C: 037D7D59
	v_add_f32_e32 v190, v90, v190                              // 000000007240: 037D7D5A
	v_add_f32_e32 v190, v91, v190                              // 000000007244: 037D7D5B
	v_add_f32_e32 v190, v92, v190                              // 000000007248: 037D7D5C
	v_add_f32_e32 v190, v93, v190                              // 00000000724C: 037D7D5D
	v_add_f32_e32 v190, v94, v190                              // 000000007250: 037D7D5E
	v_add_f32_e32 v190, v95, v190                              // 000000007254: 037D7D5F
	v_add_f32_e32 v190, v96, v190                              // 000000007258: 037D7D60
	v_add_f32_e32 v190, v97, v190                              // 00000000725C: 037D7D61
	v_add_f32_e32 v190, v98, v190                              // 000000007260: 037D7D62
	v_add_f32_e32 v190, v99, v190                              // 000000007264: 037D7D63
	v_add_f32_e32 v190, v100, v190                             // 000000007268: 037D7D64
	v_add_f32_e32 v190, v101, v190                             // 00000000726C: 037D7D65
	v_add_f32_e32 v190, v102, v190                             // 000000007270: 037D7D66
	v_add_f32_e32 v190, v103, v190                             // 000000007274: 037D7D67
	v_add_f32_e32 v190, v104, v190                             // 000000007278: 037D7D68
	v_add_f32_e32 v190, v105, v190                             // 00000000727C: 037D7D69
	v_add_f32_e32 v190, v106, v190                             // 000000007280: 037D7D6A
	v_add_f32_e32 v190, v107, v190                             // 000000007284: 037D7D6B
	v_add_f32_e32 v190, v108, v190                             // 000000007288: 037D7D6C
	v_add_f32_e32 v190, v109, v190                             // 00000000728C: 037D7D6D
	v_add_f32_e32 v190, v110, v190                             // 000000007290: 037D7D6E
	v_add_f32_e32 v190, v111, v190                             // 000000007294: 037D7D6F
	v_add_f32_e32 v190, v112, v190                             // 000000007298: 037D7D70
	v_add_f32_e32 v190, v113, v190                             // 00000000729C: 037D7D71
	v_add_f32_e32 v190, v114, v190                             // 0000000072A0: 037D7D72
	v_add_f32_e32 v190, v115, v190                             // 0000000072A4: 037D7D73
	v_mul_f32_e32 v116, v188, v116                             // 0000000072A8: 0AE8E9BC
	v_mul_f32_e32 v117, v188, v117                             // 0000000072AC: 0AEAEBBC
	v_mul_f32_e32 v118, v188, v118                             // 0000000072B0: 0AECEDBC
	v_mul_f32_e32 v119, v188, v119                             // 0000000072B4: 0AEEEFBC
	v_mul_f32_e32 v120, v188, v120                             // 0000000072B8: 0AF0F1BC
	v_mul_f32_e32 v121, v188, v121                             // 0000000072BC: 0AF2F3BC
	v_mul_f32_e32 v122, v188, v122                             // 0000000072C0: 0AF4F5BC
	v_mul_f32_e32 v123, v188, v123                             // 0000000072C4: 0AF6F7BC
	v_mul_f32_e32 v124, v188, v124                             // 0000000072C8: 0AF8F9BC
	v_mul_f32_e32 v125, v188, v125                             // 0000000072CC: 0AFAFBBC
	v_mul_f32_e32 v126, v188, v126                             // 0000000072D0: 0AFCFDBC
	v_mul_f32_e32 v127, v188, v127                             // 0000000072D4: 0AFEFFBC
	v_mul_f32_e32 v128, v188, v128                             // 0000000072D8: 0B0101BC
	v_mul_f32_e32 v129, v188, v129                             // 0000000072DC: 0B0303BC
	v_mul_f32_e32 v130, v188, v130                             // 0000000072E0: 0B0505BC
	v_mul_f32_e32 v131, v188, v131                             // 0000000072E4: 0B0707BC
	v_mul_f32_e32 v132, v188, v132                             // 0000000072E8: 0B0909BC
	v_mul_f32_e32 v133, v188, v133                             // 0000000072EC: 0B0B0BBC
	v_mul_f32_e32 v134, v188, v134                             // 0000000072F0: 0B0D0DBC
	v_mul_f32_e32 v135, v188, v135                             // 0000000072F4: 0B0F0FBC
	v_mul_f32_e32 v136, v188, v136                             // 0000000072F8: 0B1111BC
	v_mul_f32_e32 v137, v188, v137                             // 0000000072FC: 0B1313BC
	v_mul_f32_e32 v138, v188, v138                             // 000000007300: 0B1515BC
	v_mul_f32_e32 v139, v188, v139                             // 000000007304: 0B1717BC
	v_mul_f32_e32 v140, v188, v140                             // 000000007308: 0B1919BC
	v_mul_f32_e32 v141, v188, v141                             // 00000000730C: 0B1B1BBC
	v_mul_f32_e32 v142, v188, v142                             // 000000007310: 0B1D1DBC
	v_mul_f32_e32 v143, v188, v143                             // 000000007314: 0B1F1FBC
	v_mul_f32_e32 v144, v188, v144                             // 000000007318: 0B2121BC
	v_mul_f32_e32 v145, v188, v145                             // 00000000731C: 0B2323BC
	v_mul_f32_e32 v146, v188, v146                             // 000000007320: 0B2525BC
	v_mul_f32_e32 v147, v188, v147                             // 000000007324: 0B2727BC
	v_mul_f32_e32 v148, v188, v148                             // 000000007328: 0B2929BC
	v_mul_f32_e32 v149, v188, v149                             // 00000000732C: 0B2B2BBC
	v_mul_f32_e32 v150, v188, v150                             // 000000007330: 0B2D2DBC
	v_mul_f32_e32 v151, v188, v151                             // 000000007334: 0B2F2FBC
	v_mul_f32_e32 v152, v188, v152                             // 000000007338: 0B3131BC
	v_mul_f32_e32 v153, v188, v153                             // 00000000733C: 0B3333BC
	v_mul_f32_e32 v154, v188, v154                             // 000000007340: 0B3535BC
	v_mul_f32_e32 v155, v188, v155                             // 000000007344: 0B3737BC
	v_mul_f32_e32 v156, v188, v156                             // 000000007348: 0B3939BC
	v_mul_f32_e32 v157, v188, v157                             // 00000000734C: 0B3B3BBC
	v_mul_f32_e32 v158, v188, v158                             // 000000007350: 0B3D3DBC
	v_mul_f32_e32 v159, v188, v159                             // 000000007354: 0B3F3FBC
	v_mul_f32_e32 v160, v188, v160                             // 000000007358: 0B4141BC
	v_mul_f32_e32 v161, v188, v161                             // 00000000735C: 0B4343BC
	v_mul_f32_e32 v162, v188, v162                             // 000000007360: 0B4545BC
	v_mul_f32_e32 v163, v188, v163                             // 000000007364: 0B4747BC
	v_mul_f32_e32 v164, v188, v164                             // 000000007368: 0B4949BC
	v_mul_f32_e32 v165, v188, v165                             // 00000000736C: 0B4B4BBC
	v_mul_f32_e32 v166, v188, v166                             // 000000007370: 0B4D4DBC
	v_mul_f32_e32 v167, v188, v167                             // 000000007374: 0B4F4FBC
	v_mul_f32_e32 v168, v188, v168                             // 000000007378: 0B5151BC
	v_mul_f32_e32 v169, v188, v169                             // 00000000737C: 0B5353BC
	v_mul_f32_e32 v170, v188, v170                             // 000000007380: 0B5555BC
	v_mul_f32_e32 v171, v188, v171                             // 000000007384: 0B5757BC
	v_mul_f32_e32 v172, v188, v172                             // 000000007388: 0B5959BC
	v_mul_f32_e32 v173, v188, v173                             // 00000000738C: 0B5B5BBC
	v_mul_f32_e32 v174, v188, v174                             // 000000007390: 0B5D5DBC
	v_mul_f32_e32 v175, v188, v175                             // 000000007394: 0B5F5FBC
	v_mul_f32_e32 v176, v188, v176                             // 000000007398: 0B6161BC
	v_mul_f32_e32 v177, v188, v177                             // 00000000739C: 0B6363BC
	v_mul_f32_e32 v178, v188, v178                             // 0000000073A0: 0B6565BC
	v_mul_f32_e32 v179, v188, v179                             // 0000000073A4: 0B6767BC
	v_mov_b32_e32 v189, v188                                   // 0000000073A8: 7F7A03BC
	s_barrier                                                  // 0000000073AC: BF8A0000
	v_cvt_pk_fp8_f32 v52, v52, v53                             // 0000000073B0: D2A20034 00026B34
	v_cvt_pk_fp8_f32 v52, v54, v55 op_sel:[0,0,1]              // 0000000073B8: D2A24034 00026F36
	v_cvt_pk_fp8_f32 v53, v56, v57                             // 0000000073C0: D2A20035 00027338
	v_cvt_pk_fp8_f32 v53, v58, v59 op_sel:[0,0,1]              // 0000000073C8: D2A24035 0002773A
	v_cvt_pk_fp8_f32 v54, v60, v61                             // 0000000073D0: D2A20036 00027B3C
	v_cvt_pk_fp8_f32 v54, v62, v63 op_sel:[0,0,1]              // 0000000073D8: D2A24036 00027F3E
	v_cvt_pk_fp8_f32 v55, v64, v65                             // 0000000073E0: D2A20037 00028340
	v_cvt_pk_fp8_f32 v55, v66, v67 op_sel:[0,0,1]              // 0000000073E8: D2A24037 00028742
	v_cvt_pk_fp8_f32 v56, v68, v69                             // 0000000073F0: D2A20038 00028B44
	v_cvt_pk_fp8_f32 v56, v70, v71 op_sel:[0,0,1]              // 0000000073F8: D2A24038 00028F46
	v_cvt_pk_fp8_f32 v57, v72, v73                             // 000000007400: D2A20039 00029348
	v_cvt_pk_fp8_f32 v57, v74, v75 op_sel:[0,0,1]              // 000000007408: D2A24039 0002974A
	v_cvt_pk_fp8_f32 v58, v76, v77                             // 000000007410: D2A2003A 00029B4C
	v_cvt_pk_fp8_f32 v58, v78, v79 op_sel:[0,0,1]              // 000000007418: D2A2403A 00029F4E
	v_cvt_pk_fp8_f32 v59, v80, v81                             // 000000007420: D2A2003B 0002A350
	v_cvt_pk_fp8_f32 v59, v82, v83 op_sel:[0,0,1]              // 000000007428: D2A2403B 0002A752
	v_cvt_pk_fp8_f32 v60, v84, v85                             // 000000007430: D2A2003C 0002AB54
	v_cvt_pk_fp8_f32 v60, v86, v87 op_sel:[0,0,1]              // 000000007438: D2A2403C 0002AF56
	v_cvt_pk_fp8_f32 v61, v88, v89                             // 000000007440: D2A2003D 0002B358
	v_cvt_pk_fp8_f32 v61, v90, v91 op_sel:[0,0,1]              // 000000007448: D2A2403D 0002B75A
	v_cvt_pk_fp8_f32 v62, v92, v93                             // 000000007450: D2A2003E 0002BB5C
	v_cvt_pk_fp8_f32 v62, v94, v95 op_sel:[0,0,1]              // 000000007458: D2A2403E 0002BF5E
	v_cvt_pk_fp8_f32 v63, v96, v97                             // 000000007460: D2A2003F 0002C360
	v_cvt_pk_fp8_f32 v63, v98, v99 op_sel:[0,0,1]              // 000000007468: D2A2403F 0002C762
	v_cvt_pk_fp8_f32 v64, v100, v101                           // 000000007470: D2A20040 0002CB64
	v_cvt_pk_fp8_f32 v64, v102, v103 op_sel:[0,0,1]            // 000000007478: D2A24040 0002CF66
	v_cvt_pk_fp8_f32 v65, v104, v105                           // 000000007480: D2A20041 0002D368
	v_cvt_pk_fp8_f32 v65, v106, v107 op_sel:[0,0,1]            // 000000007488: D2A24041 0002D76A
	v_cvt_pk_fp8_f32 v66, v108, v109                           // 000000007490: D2A20042 0002DB6C
	v_cvt_pk_fp8_f32 v66, v110, v111 op_sel:[0,0,1]            // 000000007498: D2A24042 0002DF6E
	v_cvt_pk_fp8_f32 v67, v112, v113                           // 0000000074A0: D2A20043 0002E370
	v_cvt_pk_fp8_f32 v67, v114, v115 op_sel:[0,0,1]            // 0000000074A8: D2A24043 0002E772
	s_barrier                                                  // 0000000074B0: BF8A0000
	s_waitcnt vmcnt(0)                                         // 0000000074B4: BF8C0F70
	s_waitcnt lgkmcnt(8)                                       // 0000000074B8: BF8CC87F
	s_setprio 1                                                // 0000000074BC: BF8F0001
	s_barrier                                                  // 0000000074C0: BF8A0000
	v_mfma_f32_32x32x64_f8f6f4 v[116:131], v[20:27], v[52:59], v[116:131]// 0000000074C4: D3AE0074 05D26914
	ds_read_b64_tr_b8 v[36:37], v219 offset:32                 // 0000000074CC: D9C40020 240000DB
	ds_read_b64_tr_b8 v[38:39], v219 offset:288                // 0000000074D4: D9C40120 260000DB
	ds_read_b64_tr_b8 v[40:41], v219 offset:544                // 0000000074DC: D9C40220 280000DB
	ds_read_b64_tr_b8 v[42:43], v219 offset:800                // 0000000074E4: D9C40320 2A0000DB
	s_waitcnt lgkmcnt(8)                                       // 0000000074EC: BF8CC87F
	v_mfma_f32_32x32x64_f8f6f4 v[116:131], v[28:35], v[60:67], v[116:131]// 0000000074F0: D3AE0074 05D2791C
	ds_read_b64_tr_b8 v[44:45], v219 offset:8352               // 0000000074F8: D9C420A0 2C0000DB
	ds_read_b64_tr_b8 v[46:47], v219 offset:8608               // 000000007500: D9C421A0 2E0000DB
	ds_read_b64_tr_b8 v[48:49], v219 offset:8864               // 000000007508: D9C422A0 300000DB
	ds_read_b64_tr_b8 v[50:51], v219 offset:9120               // 000000007510: D9C423A0 320000DB
	s_waitcnt lgkmcnt(8)                                       // 000000007518: BF8CC87F
	v_mfma_f32_32x32x64_f8f6f4 v[132:147], v[36:43], v[52:59], v[132:147]// 00000000751C: D3AE0084 06126924
	ds_read_b64_tr_b8 v[20:21], v219 offset:64                 // 000000007524: D9C40040 140000DB
	ds_read_b64_tr_b8 v[22:23], v219 offset:320                // 00000000752C: D9C40140 160000DB
	ds_read_b64_tr_b8 v[24:25], v219 offset:576                // 000000007534: D9C40240 180000DB
	ds_read_b64_tr_b8 v[26:27], v219 offset:832                // 00000000753C: D9C40340 1A0000DB
	s_waitcnt lgkmcnt(8)                                       // 000000007544: BF8CC87F
	v_mfma_f32_32x32x64_f8f6f4 v[132:147], v[44:51], v[60:67], v[132:147]// 000000007548: D3AE0084 0612792C
	ds_read_b64_tr_b8 v[28:29], v219 offset:8384               // 000000007550: D9C420C0 1C0000DB
	ds_read_b64_tr_b8 v[30:31], v219 offset:8640               // 000000007558: D9C421C0 1E0000DB
	ds_read_b64_tr_b8 v[32:33], v219 offset:8896               // 000000007560: D9C422C0 200000DB
	ds_read_b64_tr_b8 v[34:35], v219 offset:9152               // 000000007568: D9C423C0 220000DB
	s_waitcnt lgkmcnt(8)                                       // 000000007570: BF8CC87F
	v_mfma_f32_32x32x64_f8f6f4 v[148:163], v[20:27], v[52:59], v[148:163]// 000000007574: D3AE0094 06526914
	ds_read_b64_tr_b8 v[36:37], v219 offset:96                 // 00000000757C: D9C40060 240000DB
	ds_read_b64_tr_b8 v[38:39], v219 offset:352                // 000000007584: D9C40160 260000DB
	ds_read_b64_tr_b8 v[40:41], v219 offset:608                // 00000000758C: D9C40260 280000DB
	ds_read_b64_tr_b8 v[42:43], v219 offset:864                // 000000007594: D9C40360 2A0000DB
	s_waitcnt lgkmcnt(8)                                       // 00000000759C: BF8CC87F
	v_mfma_f32_32x32x64_f8f6f4 v[148:163], v[28:35], v[60:67], v[148:163]// 0000000075A0: D3AE0094 0652791C
	ds_read_b64_tr_b8 v[44:45], v219 offset:8416               // 0000000075A8: D9C420E0 2C0000DB
	ds_read_b64_tr_b8 v[46:47], v219 offset:8672               // 0000000075B0: D9C421E0 2E0000DB
	ds_read_b64_tr_b8 v[48:49], v219 offset:8928               // 0000000075B8: D9C422E0 300000DB
	ds_read_b64_tr_b8 v[50:51], v219 offset:9184               // 0000000075C0: D9C423E0 320000DB
	s_waitcnt lgkmcnt(8)                                       // 0000000075C8: BF8CC87F
	v_mfma_f32_32x32x64_f8f6f4 v[164:179], v[36:43], v[52:59], v[164:179]// 0000000075CC: D3AE00A4 06926924
	ds_read_b128 v[20:23], v218 offset:16640                   // 0000000075D4: D9FE4100 140000DA
	ds_read_b128 v[24:27], v218 offset:16672                   // 0000000075DC: D9FE4120 180000DA
	s_waitcnt lgkmcnt(6)                                       // 0000000075E4: BF8CC67F
	v_mfma_f32_32x32x64_f8f6f4 v[164:179], v[44:51], v[60:67], v[164:179]// 0000000075E8: D3AE00A4 0692792C
	ds_read_b128 v[28:31], v218 offset:20800                   // 0000000075F0: D9FE5140 1C0000DA
	ds_read_b128 v[32:35], v218 offset:20832                   // 0000000075F8: D9FE5160 200000DA
	s_addk_i32 s68, 0x80                                       // 000000007600: B7440080

0000000000007604 <label_3B04>:
	s_cmp_lt_i32 s68, s43                                      // 000000007604: BF042B44
	s_cbranch_scc0 label_6470                                  // 000000007608: BF840A59
	s_waitcnt lgkmcnt(2)                                       // 00000000760C: BF8CC27F
	v_mfma_f32_32x32x64_f8f6f4 v[52:67], v[20:27], v[4:11], 0  // 000000007610: D3AE0034 02020914
	v_mul_i32_i24_dpp v184, v180, v222 quad_perm:[0,0,0,0] row_mask:0xf bank_mask:0xf// 000000007618: 0D71BCFA FF0000B4
	v_mul_i32_i24_dpp v185, v180, v222 quad_perm:[1,1,1,1] row_mask:0xf bank_mask:0xf// 000000007620: 0D73BCFA FF0055B4
	v_add_u32_e32 v211, v210, v184                             // 000000007628: 69A771D2
	v_add_u32_e32 v212, v210, v185                             // 00000000762C: 69A973D2
	ds_read_b128 v[36:39], v218 offset:17152                   // 000000007630: D9FE4300 240000DA
	ds_read_b128 v[40:43], v218 offset:17184                   // 000000007638: D9FE4320 280000DA
	s_waitcnt lgkmcnt(2)                                       // 000000007640: BF8CC27F
	v_mfma_f32_32x32x64_f8f6f4 v[52:67], v[28:35], v[12:19], v[52:67]// 000000007644: D3AE0034 04D2191C
	s_add_u32 m0, s71, 0                                       // 00000000764C: 807C8047
	buffer_load_dwordx4 v211, s[12:15], 0 offen lds            // 000000007650: E05D1000 800300D3
	ds_read_b128 v[44:47], v218 offset:21312                   // 000000007658: D9FE5340 2C0000DA
	ds_read_b128 v[48:51], v218 offset:21344                   // 000000007660: D9FE5360 300000DA
	s_waitcnt lgkmcnt(2)                                       // 000000007668: BF8CC27F
	v_mfma_f32_32x32x64_f8f6f4 v[68:83], v[36:43], v[4:11], 0  // 00000000766C: D3AE0044 02020924
	s_add_u32 m0, s71, 0x410                                   // 000000007674: 807CFF47 00000410
	buffer_load_dwordx4 v212, s[12:15], 0 offen lds            // 00000000767C: E05D1000 800300D4
	ds_read_b128 v[20:23], v218 offset:24960                   // 000000007684: D9FE6180 140000DA
	ds_read_b128 v[24:27], v218 offset:24992                   // 00000000768C: D9FE61A0 180000DA
	s_waitcnt lgkmcnt(2)                                       // 000000007694: BF8CC27F
	v_mfma_f32_32x32x64_f8f6f4 v[68:83], v[44:51], v[12:19], v[68:83]// 000000007698: D3AE0044 0512192C
	s_add_u32 m0, s71, 0x1000                                  // 0000000076A0: 807CFF47 00001000
	buffer_load_dwordx4 v211, s[12:15], 0 offen offset:64 lds  // 0000000076A8: E05D1040 800300D3
	ds_read_b128 v[28:31], v218 offset:29120                   // 0000000076B0: D9FE71C0 1C0000DA
	ds_read_b128 v[32:35], v218 offset:29152                   // 0000000076B8: D9FE71E0 200000DA
	s_waitcnt lgkmcnt(2)                                       // 0000000076C0: BF8CC27F
	v_mfma_f32_32x32x64_f8f6f4 v[84:99], v[20:27], v[4:11], 0  // 0000000076C4: D3AE0054 02020914
	s_add_u32 m0, s71, 0x1410                                  // 0000000076CC: 807CFF47 00001410
	buffer_load_dwordx4 v212, s[12:15], 0 offen offset:64 lds  // 0000000076D4: E05D1040 800300D4
	ds_read_b128 v[36:39], v218 offset:25472                   // 0000000076DC: D9FE6380 240000DA
	ds_read_b128 v[40:43], v218 offset:25504                   // 0000000076E4: D9FE63A0 280000DA
	s_waitcnt lgkmcnt(2)                                       // 0000000076EC: BF8CC27F
	v_mfma_f32_32x32x64_f8f6f4 v[84:99], v[28:35], v[12:19], v[84:99]// 0000000076F0: D3AE0054 0552191C
	ds_read_b128 v[44:47], v218 offset:29632                   // 0000000076F8: D9FE73C0 2C0000DA
	ds_read_b128 v[48:51], v218 offset:29664                   // 000000007700: D9FE73E0 300000DA
	s_waitcnt lgkmcnt(2)                                       // 000000007708: BF8CC27F
	v_mfma_f32_32x32x64_f8f6f4 v[100:115], v[36:43], v[4:11], 0// 00000000770C: D3AE0064 02020924
	s_barrier                                                  // 000000007714: BF8A0000
	ds_read_b64_tr_b8 v[20:21], v219 offset:16640              // 000000007718: D9C44100 140000DB
	ds_read_b64_tr_b8 v[22:23], v219 offset:16896              // 000000007720: D9C44200 160000DB
	ds_read_b64_tr_b8 v[24:25], v219 offset:17152              // 000000007728: D9C44300 180000DB
	ds_read_b64_tr_b8 v[26:27], v219 offset:17408              // 000000007730: D9C44400 1A0000DB
	s_waitcnt lgkmcnt(4)                                       // 000000007738: BF8CC47F
	v_mfma_f32_32x32x64_f8f6f4 v[100:115], v[44:51], v[12:19], v[100:115]// 00000000773C: D3AE0064 0592192C
	ds_read_b64_tr_b8 v[28:29], v219 offset:24960              // 000000007744: D9C46180 1C0000DB
	ds_read_b64_tr_b8 v[30:31], v219 offset:25216              // 00000000774C: D9C46280 1E0000DB
	ds_read_b64_tr_b8 v[32:33], v219 offset:25472              // 000000007754: D9C46380 200000DB
	ds_read_b64_tr_b8 v[34:35], v219 offset:25728              // 00000000775C: D9C46480 220000DB
	s_nop 5                                                    // 000000007764: BF800005
	s_barrier                                                  // 000000007768: BF8A0000
	s_setprio 0                                                // 00000000776C: BF8F0000
	s_barrier                                                  // 000000007770: BF8A0000
	v_add_u32_e32 v184, s68, v195                              // 000000007774: 69718644
	v_add_u32_e32 v185, 0, v184                                // 000000007778: 69737080
	v_cmp_lt_i32_e32 vcc, v185, v194                           // 00000000777C: 7D8385B9
	s_nop 0                                                    // 000000007780: BF800000
	v_cndmask_b32_e32 v52, v197, v52, vcc                      // 000000007784: 006869C5
	v_add_u32_e32 v185, 1, v184                                // 000000007788: 69737081
	v_cmp_lt_i32_e32 vcc, v185, v194                           // 00000000778C: 7D8385B9
	s_nop 0                                                    // 000000007790: BF800000
	v_cndmask_b32_e32 v53, v197, v53, vcc                      // 000000007794: 006A6BC5
	v_add_u32_e32 v185, 2, v184                                // 000000007798: 69737082
	v_cmp_lt_i32_e32 vcc, v185, v194                           // 00000000779C: 7D8385B9
	s_nop 0                                                    // 0000000077A0: BF800000
	v_cndmask_b32_e32 v54, v197, v54, vcc                      // 0000000077A4: 006C6DC5
	v_add_u32_e32 v185, 3, v184                                // 0000000077A8: 69737083
	v_cmp_lt_i32_e32 vcc, v185, v194                           // 0000000077AC: 7D8385B9
	s_nop 0                                                    // 0000000077B0: BF800000
	v_cndmask_b32_e32 v55, v197, v55, vcc                      // 0000000077B4: 006E6FC5
	v_add_u32_e32 v185, 8, v184                                // 0000000077B8: 69737088
	v_cmp_lt_i32_e32 vcc, v185, v194                           // 0000000077BC: 7D8385B9
	s_nop 0                                                    // 0000000077C0: BF800000
	v_cndmask_b32_e32 v56, v197, v56, vcc                      // 0000000077C4: 007071C5
	v_add_u32_e32 v185, 9, v184                                // 0000000077C8: 69737089
	v_cmp_lt_i32_e32 vcc, v185, v194                           // 0000000077CC: 7D8385B9
	s_nop 0                                                    // 0000000077D0: BF800000
	v_cndmask_b32_e32 v57, v197, v57, vcc                      // 0000000077D4: 007273C5
	v_add_u32_e32 v185, 10, v184                               // 0000000077D8: 6973708A
	v_cmp_lt_i32_e32 vcc, v185, v194                           // 0000000077DC: 7D8385B9
	s_nop 0                                                    // 0000000077E0: BF800000
	v_cndmask_b32_e32 v58, v197, v58, vcc                      // 0000000077E4: 007475C5
	v_add_u32_e32 v185, 11, v184                               // 0000000077E8: 6973708B
	v_cmp_lt_i32_e32 vcc, v185, v194                           // 0000000077EC: 7D8385B9
	s_nop 0                                                    // 0000000077F0: BF800000
	v_cndmask_b32_e32 v59, v197, v59, vcc                      // 0000000077F4: 007677C5
	v_add_u32_e32 v185, 16, v184                               // 0000000077F8: 69737090
	v_cmp_lt_i32_e32 vcc, v185, v194                           // 0000000077FC: 7D8385B9
	s_nop 0                                                    // 000000007800: BF800000
	v_cndmask_b32_e32 v60, v197, v60, vcc                      // 000000007804: 007879C5
	v_add_u32_e32 v185, 17, v184                               // 000000007808: 69737091
	v_cmp_lt_i32_e32 vcc, v185, v194                           // 00000000780C: 7D8385B9
	s_nop 0                                                    // 000000007810: BF800000
	v_cndmask_b32_e32 v61, v197, v61, vcc                      // 000000007814: 007A7BC5
	v_add_u32_e32 v185, 18, v184                               // 000000007818: 69737092
	v_cmp_lt_i32_e32 vcc, v185, v194                           // 00000000781C: 7D8385B9
	s_nop 0                                                    // 000000007820: BF800000
	v_cndmask_b32_e32 v62, v197, v62, vcc                      // 000000007824: 007C7DC5
	v_add_u32_e32 v185, 19, v184                               // 000000007828: 69737093
	v_cmp_lt_i32_e32 vcc, v185, v194                           // 00000000782C: 7D8385B9
	s_nop 0                                                    // 000000007830: BF800000
	v_cndmask_b32_e32 v63, v197, v63, vcc                      // 000000007834: 007E7FC5
	v_add_u32_e32 v185, 24, v184                               // 000000007838: 69737098
	v_cmp_lt_i32_e32 vcc, v185, v194                           // 00000000783C: 7D8385B9
	s_nop 0                                                    // 000000007840: BF800000
	v_cndmask_b32_e32 v64, v197, v64, vcc                      // 000000007844: 008081C5
	v_add_u32_e32 v185, 25, v184                               // 000000007848: 69737099
	v_cmp_lt_i32_e32 vcc, v185, v194                           // 00000000784C: 7D8385B9
	s_nop 0                                                    // 000000007850: BF800000
	v_cndmask_b32_e32 v65, v197, v65, vcc                      // 000000007854: 008283C5
	v_add_u32_e32 v185, 26, v184                               // 000000007858: 6973709A
	v_cmp_lt_i32_e32 vcc, v185, v194                           // 00000000785C: 7D8385B9
	s_nop 0                                                    // 000000007860: BF800000
	v_cndmask_b32_e32 v66, v197, v66, vcc                      // 000000007864: 008485C5
	v_add_u32_e32 v185, 27, v184                               // 000000007868: 6973709B
	v_cmp_lt_i32_e32 vcc, v185, v194                           // 00000000786C: 7D8385B9
	s_nop 0                                                    // 000000007870: BF800000
	v_cndmask_b32_e32 v67, v197, v67, vcc                      // 000000007874: 008687C5
	v_add_u32_e32 v185, 32, v184                               // 000000007878: 697370A0
	v_cmp_lt_i32_e32 vcc, v185, v194                           // 00000000787C: 7D8385B9
	s_nop 0                                                    // 000000007880: BF800000
	v_cndmask_b32_e32 v68, v197, v68, vcc                      // 000000007884: 008889C5
	v_add_u32_e32 v185, 33, v184                               // 000000007888: 697370A1
	v_cmp_lt_i32_e32 vcc, v185, v194                           // 00000000788C: 7D8385B9
	s_nop 0                                                    // 000000007890: BF800000
	v_cndmask_b32_e32 v69, v197, v69, vcc                      // 000000007894: 008A8BC5
	v_add_u32_e32 v185, 34, v184                               // 000000007898: 697370A2
	v_cmp_lt_i32_e32 vcc, v185, v194                           // 00000000789C: 7D8385B9
	s_nop 0                                                    // 0000000078A0: BF800000
	v_cndmask_b32_e32 v70, v197, v70, vcc                      // 0000000078A4: 008C8DC5
	v_add_u32_e32 v185, 35, v184                               // 0000000078A8: 697370A3
	v_cmp_lt_i32_e32 vcc, v185, v194                           // 0000000078AC: 7D8385B9
	s_nop 0                                                    // 0000000078B0: BF800000
	v_cndmask_b32_e32 v71, v197, v71, vcc                      // 0000000078B4: 008E8FC5
	v_add_u32_e32 v185, 40, v184                               // 0000000078B8: 697370A8
	v_cmp_lt_i32_e32 vcc, v185, v194                           // 0000000078BC: 7D8385B9
	s_nop 0                                                    // 0000000078C0: BF800000
	v_cndmask_b32_e32 v72, v197, v72, vcc                      // 0000000078C4: 009091C5
	v_add_u32_e32 v185, 41, v184                               // 0000000078C8: 697370A9
	v_cmp_lt_i32_e32 vcc, v185, v194                           // 0000000078CC: 7D8385B9
	s_nop 0                                                    // 0000000078D0: BF800000
	v_cndmask_b32_e32 v73, v197, v73, vcc                      // 0000000078D4: 009293C5
	v_add_u32_e32 v185, 42, v184                               // 0000000078D8: 697370AA
	v_cmp_lt_i32_e32 vcc, v185, v194                           // 0000000078DC: 7D8385B9
	s_nop 0                                                    // 0000000078E0: BF800000
	v_cndmask_b32_e32 v74, v197, v74, vcc                      // 0000000078E4: 009495C5
	v_add_u32_e32 v185, 43, v184                               // 0000000078E8: 697370AB
	v_cmp_lt_i32_e32 vcc, v185, v194                           // 0000000078EC: 7D8385B9
	s_nop 0                                                    // 0000000078F0: BF800000
	v_cndmask_b32_e32 v75, v197, v75, vcc                      // 0000000078F4: 009697C5
	v_add_u32_e32 v185, 48, v184                               // 0000000078F8: 697370B0
	v_cmp_lt_i32_e32 vcc, v185, v194                           // 0000000078FC: 7D8385B9
	s_nop 0                                                    // 000000007900: BF800000
	v_cndmask_b32_e32 v76, v197, v76, vcc                      // 000000007904: 009899C5
	v_add_u32_e32 v185, 49, v184                               // 000000007908: 697370B1
	v_cmp_lt_i32_e32 vcc, v185, v194                           // 00000000790C: 7D8385B9
	s_nop 0                                                    // 000000007910: BF800000
	v_cndmask_b32_e32 v77, v197, v77, vcc                      // 000000007914: 009A9BC5
	v_add_u32_e32 v185, 50, v184                               // 000000007918: 697370B2
	v_cmp_lt_i32_e32 vcc, v185, v194                           // 00000000791C: 7D8385B9
	s_nop 0                                                    // 000000007920: BF800000
	v_cndmask_b32_e32 v78, v197, v78, vcc                      // 000000007924: 009C9DC5
	v_add_u32_e32 v185, 51, v184                               // 000000007928: 697370B3
	v_cmp_lt_i32_e32 vcc, v185, v194                           // 00000000792C: 7D8385B9
	s_nop 0                                                    // 000000007930: BF800000
	v_cndmask_b32_e32 v79, v197, v79, vcc                      // 000000007934: 009E9FC5
	v_add_u32_e32 v185, 56, v184                               // 000000007938: 697370B8
	v_cmp_lt_i32_e32 vcc, v185, v194                           // 00000000793C: 7D8385B9
	s_nop 0                                                    // 000000007940: BF800000
	v_cndmask_b32_e32 v80, v197, v80, vcc                      // 000000007944: 00A0A1C5
	v_add_u32_e32 v185, 57, v184                               // 000000007948: 697370B9
	v_cmp_lt_i32_e32 vcc, v185, v194                           // 00000000794C: 7D8385B9
	s_nop 0                                                    // 000000007950: BF800000
	v_cndmask_b32_e32 v81, v197, v81, vcc                      // 000000007954: 00A2A3C5
	v_add_u32_e32 v185, 58, v184                               // 000000007958: 697370BA
	v_cmp_lt_i32_e32 vcc, v185, v194                           // 00000000795C: 7D8385B9
	s_nop 0                                                    // 000000007960: BF800000
	v_cndmask_b32_e32 v82, v197, v82, vcc                      // 000000007964: 00A4A5C5
	v_add_u32_e32 v185, 59, v184                               // 000000007968: 697370BB
	v_cmp_lt_i32_e32 vcc, v185, v194                           // 00000000796C: 7D8385B9
	s_nop 0                                                    // 000000007970: BF800000
	v_cndmask_b32_e32 v83, v197, v83, vcc                      // 000000007974: 00A6A7C5
	v_add_u32_e32 v185, 64, v184                               // 000000007978: 697370C0
	v_cmp_lt_i32_e32 vcc, v185, v194                           // 00000000797C: 7D8385B9
	s_nop 0                                                    // 000000007980: BF800000
	v_cndmask_b32_e32 v84, v197, v84, vcc                      // 000000007984: 00A8A9C5
	v_add_u32_e32 v185, 0x41, v184                             // 000000007988: 697370FF 00000041
	v_cmp_lt_i32_e32 vcc, v185, v194                           // 000000007990: 7D8385B9
	s_nop 0                                                    // 000000007994: BF800000
	v_cndmask_b32_e32 v85, v197, v85, vcc                      // 000000007998: 00AAABC5
	v_add_u32_e32 v185, 0x42, v184                             // 00000000799C: 697370FF 00000042
	v_cmp_lt_i32_e32 vcc, v185, v194                           // 0000000079A4: 7D8385B9
	s_nop 0                                                    // 0000000079A8: BF800000
	v_cndmask_b32_e32 v86, v197, v86, vcc                      // 0000000079AC: 00ACADC5
	v_add_u32_e32 v185, 0x43, v184                             // 0000000079B0: 697370FF 00000043
	v_cmp_lt_i32_e32 vcc, v185, v194                           // 0000000079B8: 7D8385B9
	s_nop 0                                                    // 0000000079BC: BF800000
	v_cndmask_b32_e32 v87, v197, v87, vcc                      // 0000000079C0: 00AEAFC5
	v_add_u32_e32 v185, 0x48, v184                             // 0000000079C4: 697370FF 00000048
	v_cmp_lt_i32_e32 vcc, v185, v194                           // 0000000079CC: 7D8385B9
	s_nop 0                                                    // 0000000079D0: BF800000
	v_cndmask_b32_e32 v88, v197, v88, vcc                      // 0000000079D4: 00B0B1C5
	v_add_u32_e32 v185, 0x49, v184                             // 0000000079D8: 697370FF 00000049
	v_cmp_lt_i32_e32 vcc, v185, v194                           // 0000000079E0: 7D8385B9
	s_nop 0                                                    // 0000000079E4: BF800000
	v_cndmask_b32_e32 v89, v197, v89, vcc                      // 0000000079E8: 00B2B3C5
	v_add_u32_e32 v185, 0x4a, v184                             // 0000000079EC: 697370FF 0000004A
	v_cmp_lt_i32_e32 vcc, v185, v194                           // 0000000079F4: 7D8385B9
	s_nop 0                                                    // 0000000079F8: BF800000
	v_cndmask_b32_e32 v90, v197, v90, vcc                      // 0000000079FC: 00B4B5C5
	v_add_u32_e32 v185, 0x4b, v184                             // 000000007A00: 697370FF 0000004B
	v_cmp_lt_i32_e32 vcc, v185, v194                           // 000000007A08: 7D8385B9
	s_nop 0                                                    // 000000007A0C: BF800000
	v_cndmask_b32_e32 v91, v197, v91, vcc                      // 000000007A10: 00B6B7C5
	v_add_u32_e32 v185, 0x50, v184                             // 000000007A14: 697370FF 00000050
	v_cmp_lt_i32_e32 vcc, v185, v194                           // 000000007A1C: 7D8385B9
	s_nop 0                                                    // 000000007A20: BF800000
	v_cndmask_b32_e32 v92, v197, v92, vcc                      // 000000007A24: 00B8B9C5
	v_add_u32_e32 v185, 0x51, v184                             // 000000007A28: 697370FF 00000051
	v_cmp_lt_i32_e32 vcc, v185, v194                           // 000000007A30: 7D8385B9
	s_nop 0                                                    // 000000007A34: BF800000
	v_cndmask_b32_e32 v93, v197, v93, vcc                      // 000000007A38: 00BABBC5
	v_add_u32_e32 v185, 0x52, v184                             // 000000007A3C: 697370FF 00000052
	v_cmp_lt_i32_e32 vcc, v185, v194                           // 000000007A44: 7D8385B9
	s_nop 0                                                    // 000000007A48: BF800000
	v_cndmask_b32_e32 v94, v197, v94, vcc                      // 000000007A4C: 00BCBDC5
	v_add_u32_e32 v185, 0x53, v184                             // 000000007A50: 697370FF 00000053
	v_cmp_lt_i32_e32 vcc, v185, v194                           // 000000007A58: 7D8385B9
	s_nop 0                                                    // 000000007A5C: BF800000
	v_cndmask_b32_e32 v95, v197, v95, vcc                      // 000000007A60: 00BEBFC5
	v_add_u32_e32 v185, 0x58, v184                             // 000000007A64: 697370FF 00000058
	v_cmp_lt_i32_e32 vcc, v185, v194                           // 000000007A6C: 7D8385B9
	s_nop 0                                                    // 000000007A70: BF800000
	v_cndmask_b32_e32 v96, v197, v96, vcc                      // 000000007A74: 00C0C1C5
	v_add_u32_e32 v185, 0x59, v184                             // 000000007A78: 697370FF 00000059
	v_cmp_lt_i32_e32 vcc, v185, v194                           // 000000007A80: 7D8385B9
	s_nop 0                                                    // 000000007A84: BF800000
	v_cndmask_b32_e32 v97, v197, v97, vcc                      // 000000007A88: 00C2C3C5
	v_add_u32_e32 v185, 0x5a, v184                             // 000000007A8C: 697370FF 0000005A
	v_cmp_lt_i32_e32 vcc, v185, v194                           // 000000007A94: 7D8385B9
	s_nop 0                                                    // 000000007A98: BF800000
	v_cndmask_b32_e32 v98, v197, v98, vcc                      // 000000007A9C: 00C4C5C5
	v_add_u32_e32 v185, 0x5b, v184                             // 000000007AA0: 697370FF 0000005B
	v_cmp_lt_i32_e32 vcc, v185, v194                           // 000000007AA8: 7D8385B9
	s_nop 0                                                    // 000000007AAC: BF800000
	v_cndmask_b32_e32 v99, v197, v99, vcc                      // 000000007AB0: 00C6C7C5
	v_add_u32_e32 v185, 0x60, v184                             // 000000007AB4: 697370FF 00000060
	v_cmp_lt_i32_e32 vcc, v185, v194                           // 000000007ABC: 7D8385B9
	s_nop 0                                                    // 000000007AC0: BF800000
	v_cndmask_b32_e32 v100, v197, v100, vcc                    // 000000007AC4: 00C8C9C5
	v_add_u32_e32 v185, 0x61, v184                             // 000000007AC8: 697370FF 00000061
	v_cmp_lt_i32_e32 vcc, v185, v194                           // 000000007AD0: 7D8385B9
	s_nop 0                                                    // 000000007AD4: BF800000
	v_cndmask_b32_e32 v101, v197, v101, vcc                    // 000000007AD8: 00CACBC5
	v_add_u32_e32 v185, 0x62, v184                             // 000000007ADC: 697370FF 00000062
	v_cmp_lt_i32_e32 vcc, v185, v194                           // 000000007AE4: 7D8385B9
	s_nop 0                                                    // 000000007AE8: BF800000
	v_cndmask_b32_e32 v102, v197, v102, vcc                    // 000000007AEC: 00CCCDC5
	v_add_u32_e32 v185, 0x63, v184                             // 000000007AF0: 697370FF 00000063
	v_cmp_lt_i32_e32 vcc, v185, v194                           // 000000007AF8: 7D8385B9
	s_nop 0                                                    // 000000007AFC: BF800000
	v_cndmask_b32_e32 v103, v197, v103, vcc                    // 000000007B00: 00CECFC5
	v_add_u32_e32 v185, 0x68, v184                             // 000000007B04: 697370FF 00000068
	v_cmp_lt_i32_e32 vcc, v185, v194                           // 000000007B0C: 7D8385B9
	s_nop 0                                                    // 000000007B10: BF800000
	v_cndmask_b32_e32 v104, v197, v104, vcc                    // 000000007B14: 00D0D1C5
	v_add_u32_e32 v185, 0x69, v184                             // 000000007B18: 697370FF 00000069
	v_cmp_lt_i32_e32 vcc, v185, v194                           // 000000007B20: 7D8385B9
	s_nop 0                                                    // 000000007B24: BF800000
	v_cndmask_b32_e32 v105, v197, v105, vcc                    // 000000007B28: 00D2D3C5
	v_add_u32_e32 v185, 0x6a, v184                             // 000000007B2C: 697370FF 0000006A
	v_cmp_lt_i32_e32 vcc, v185, v194                           // 000000007B34: 7D8385B9
	s_nop 0                                                    // 000000007B38: BF800000
	v_cndmask_b32_e32 v106, v197, v106, vcc                    // 000000007B3C: 00D4D5C5
	v_add_u32_e32 v185, 0x6b, v184                             // 000000007B40: 697370FF 0000006B
	v_cmp_lt_i32_e32 vcc, v185, v194                           // 000000007B48: 7D8385B9
	s_nop 0                                                    // 000000007B4C: BF800000
	v_cndmask_b32_e32 v107, v197, v107, vcc                    // 000000007B50: 00D6D7C5
	v_add_u32_e32 v185, 0x70, v184                             // 000000007B54: 697370FF 00000070
	v_cmp_lt_i32_e32 vcc, v185, v194                           // 000000007B5C: 7D8385B9
	s_nop 0                                                    // 000000007B60: BF800000
	v_cndmask_b32_e32 v108, v197, v108, vcc                    // 000000007B64: 00D8D9C5
	v_add_u32_e32 v185, 0x71, v184                             // 000000007B68: 697370FF 00000071
	v_cmp_lt_i32_e32 vcc, v185, v194                           // 000000007B70: 7D8385B9
	s_nop 0                                                    // 000000007B74: BF800000
	v_cndmask_b32_e32 v109, v197, v109, vcc                    // 000000007B78: 00DADBC5
	v_add_u32_e32 v185, 0x72, v184                             // 000000007B7C: 697370FF 00000072
	v_cmp_lt_i32_e32 vcc, v185, v194                           // 000000007B84: 7D8385B9
	s_nop 0                                                    // 000000007B88: BF800000
	v_cndmask_b32_e32 v110, v197, v110, vcc                    // 000000007B8C: 00DCDDC5
	v_add_u32_e32 v185, 0x73, v184                             // 000000007B90: 697370FF 00000073
	v_cmp_lt_i32_e32 vcc, v185, v194                           // 000000007B98: 7D8385B9
	s_nop 0                                                    // 000000007B9C: BF800000
	v_cndmask_b32_e32 v111, v197, v111, vcc                    // 000000007BA0: 00DEDFC5
	v_add_u32_e32 v185, 0x78, v184                             // 000000007BA4: 697370FF 00000078
	v_cmp_lt_i32_e32 vcc, v185, v194                           // 000000007BAC: 7D8385B9
	s_nop 0                                                    // 000000007BB0: BF800000
	v_cndmask_b32_e32 v112, v197, v112, vcc                    // 000000007BB4: 00E0E1C5
	v_add_u32_e32 v185, 0x79, v184                             // 000000007BB8: 697370FF 00000079
	v_cmp_lt_i32_e32 vcc, v185, v194                           // 000000007BC0: 7D8385B9
	s_nop 0                                                    // 000000007BC4: BF800000
	v_cndmask_b32_e32 v113, v197, v113, vcc                    // 000000007BC8: 00E2E3C5
	v_add_u32_e32 v185, 0x7a, v184                             // 000000007BCC: 697370FF 0000007A
	v_cmp_lt_i32_e32 vcc, v185, v194                           // 000000007BD4: 7D8385B9
	s_nop 0                                                    // 000000007BD8: BF800000
	v_cndmask_b32_e32 v114, v197, v114, vcc                    // 000000007BDC: 00E4E5C5
	v_add_u32_e32 v185, 0x7b, v184                             // 000000007BE0: 697370FF 0000007B
	v_cmp_lt_i32_e32 vcc, v185, v194                           // 000000007BE8: 7D8385B9
	s_nop 0                                                    // 000000007BEC: BF800000
	v_cndmask_b32_e32 v115, v197, v115, vcc                    // 000000007BF0: 00E6E7C5
	v_mov_b32_e32 v193, v192                                   // 000000007BF4: 7F8203C0
	v_max3_f32 v193, v52, v53, v193                            // 000000007BF8: D1D300C1 07066B34
	v_max3_f32 v193, v54, v55, v193                            // 000000007C00: D1D300C1 07066F36
	v_max3_f32 v193, v56, v57, v193                            // 000000007C08: D1D300C1 07067338
	v_max3_f32 v193, v58, v59, v193                            // 000000007C10: D1D300C1 0706773A
	v_max3_f32 v193, v60, v61, v193                            // 000000007C18: D1D300C1 07067B3C
	v_max3_f32 v193, v62, v63, v193                            // 000000007C20: D1D300C1 07067F3E
	v_max3_f32 v193, v64, v65, v193                            // 000000007C28: D1D300C1 07068340
	v_max3_f32 v193, v66, v67, v193                            // 000000007C30: D1D300C1 07068742
	v_max3_f32 v193, v68, v69, v193                            // 000000007C38: D1D300C1 07068B44
	v_max3_f32 v193, v70, v71, v193                            // 000000007C40: D1D300C1 07068F46
	v_max3_f32 v193, v72, v73, v193                            // 000000007C48: D1D300C1 07069348
	v_max3_f32 v193, v74, v75, v193                            // 000000007C50: D1D300C1 0706974A
	v_max3_f32 v193, v76, v77, v193                            // 000000007C58: D1D300C1 07069B4C
	v_max3_f32 v193, v78, v79, v193                            // 000000007C60: D1D300C1 07069F4E
	v_max3_f32 v193, v80, v81, v193                            // 000000007C68: D1D300C1 0706A350
	v_max3_f32 v193, v82, v83, v193                            // 000000007C70: D1D300C1 0706A752
	v_max3_f32 v193, v84, v85, v193                            // 000000007C78: D1D300C1 0706AB54
	v_max3_f32 v193, v86, v87, v193                            // 000000007C80: D1D300C1 0706AF56
	v_max3_f32 v193, v88, v89, v193                            // 000000007C88: D1D300C1 0706B358
	v_max3_f32 v193, v90, v91, v193                            // 000000007C90: D1D300C1 0706B75A
	v_max3_f32 v193, v92, v93, v193                            // 000000007C98: D1D300C1 0706BB5C
	v_max3_f32 v193, v94, v95, v193                            // 000000007CA0: D1D300C1 0706BF5E
	v_max3_f32 v193, v96, v97, v193                            // 000000007CA8: D1D300C1 0706C360
	v_max3_f32 v193, v98, v99, v193                            // 000000007CB0: D1D300C1 0706C762
	v_max3_f32 v193, v100, v101, v193                          // 000000007CB8: D1D300C1 0706CB64
	v_max3_f32 v193, v102, v103, v193                          // 000000007CC0: D1D300C1 0706CF66
	v_max3_f32 v193, v104, v105, v193                          // 000000007CC8: D1D300C1 0706D368
	v_max3_f32 v193, v106, v107, v193                          // 000000007CD0: D1D300C1 0706D76A
	v_max3_f32 v193, v108, v109, v193                          // 000000007CD8: D1D300C1 0706DB6C
	v_max3_f32 v193, v110, v111, v193                          // 000000007CE0: D1D300C1 0706DF6E
	v_max3_f32 v193, v112, v113, v193                          // 000000007CE8: D1D300C1 0706E370
	v_max3_f32 v193, v114, v115, v193                          // 000000007CF0: D1D300C1 0706E772
	v_mov_b32_e32 v184, v193                                   // 000000007CF8: 7F7003C1
	s_nop 1                                                    // 000000007CFC: BF800001
	s_nop 0                                                    // 000000007D00: BF800000
	v_permlane32_swap_b32_e32 v184, v193                       // 000000007D04: 7F70B5C1
	v_max_f32_e32 v193, v193, v184                             // 000000007D08: 178371C1
	v_cmp_eq_u32_e64 s[66:67], v197, v193                      // 000000007D0C: D0CA0042 000383C5
	s_nop 0                                                    // 000000007D14: BF800000
	v_cndmask_b32_e64 v193, v193, 0, s[66:67]                  // 000000007D18: D10000C1 010901C1
	v_mul_f32_e64 v184, -s26, v193                             // 000000007D20: D10500B8 2003821A
	v_mov_b32_e32 v185, v184                                   // 000000007D28: 7F7203B8
	v_pk_fma_f32 v[52:53], v[52:53], s[26:27], v[184:185]      // 000000007D2C: D3B04034 1EE03534
	v_pk_fma_f32 v[54:55], v[54:55], s[26:27], v[184:185]      // 000000007D34: D3B04036 1EE03536
	v_pk_fma_f32 v[56:57], v[56:57], s[26:27], v[184:185]      // 000000007D3C: D3B04038 1EE03538
	v_pk_fma_f32 v[58:59], v[58:59], s[26:27], v[184:185]      // 000000007D44: D3B0403A 1EE0353A
	v_pk_fma_f32 v[60:61], v[60:61], s[26:27], v[184:185]      // 000000007D4C: D3B0403C 1EE0353C
	v_pk_fma_f32 v[62:63], v[62:63], s[26:27], v[184:185]      // 000000007D54: D3B0403E 1EE0353E
	v_pk_fma_f32 v[64:65], v[64:65], s[26:27], v[184:185]      // 000000007D5C: D3B04040 1EE03540
	v_pk_fma_f32 v[66:67], v[66:67], s[26:27], v[184:185]      // 000000007D64: D3B04042 1EE03542
	v_pk_fma_f32 v[68:69], v[68:69], s[26:27], v[184:185]      // 000000007D6C: D3B04044 1EE03544
	v_pk_fma_f32 v[70:71], v[70:71], s[26:27], v[184:185]      // 000000007D74: D3B04046 1EE03546
	v_pk_fma_f32 v[72:73], v[72:73], s[26:27], v[184:185]      // 000000007D7C: D3B04048 1EE03548
	v_pk_fma_f32 v[74:75], v[74:75], s[26:27], v[184:185]      // 000000007D84: D3B0404A 1EE0354A
	v_pk_fma_f32 v[76:77], v[76:77], s[26:27], v[184:185]      // 000000007D8C: D3B0404C 1EE0354C
	v_pk_fma_f32 v[78:79], v[78:79], s[26:27], v[184:185]      // 000000007D94: D3B0404E 1EE0354E
	v_pk_fma_f32 v[80:81], v[80:81], s[26:27], v[184:185]      // 000000007D9C: D3B04050 1EE03550
	v_pk_fma_f32 v[82:83], v[82:83], s[26:27], v[184:185]      // 000000007DA4: D3B04052 1EE03552
	v_pk_fma_f32 v[84:85], v[84:85], s[26:27], v[184:185]      // 000000007DAC: D3B04054 1EE03554
	v_pk_fma_f32 v[86:87], v[86:87], s[26:27], v[184:185]      // 000000007DB4: D3B04056 1EE03556
	v_pk_fma_f32 v[88:89], v[88:89], s[26:27], v[184:185]      // 000000007DBC: D3B04058 1EE03558
	v_pk_fma_f32 v[90:91], v[90:91], s[26:27], v[184:185]      // 000000007DC4: D3B0405A 1EE0355A
	v_pk_fma_f32 v[92:93], v[92:93], s[26:27], v[184:185]      // 000000007DCC: D3B0405C 1EE0355C
	v_pk_fma_f32 v[94:95], v[94:95], s[26:27], v[184:185]      // 000000007DD4: D3B0405E 1EE0355E
	v_pk_fma_f32 v[96:97], v[96:97], s[26:27], v[184:185]      // 000000007DDC: D3B04060 1EE03560
	v_pk_fma_f32 v[98:99], v[98:99], s[26:27], v[184:185]      // 000000007DE4: D3B04062 1EE03562
	v_pk_fma_f32 v[100:101], v[100:101], s[26:27], v[184:185]  // 000000007DEC: D3B04064 1EE03564
	v_pk_fma_f32 v[102:103], v[102:103], s[26:27], v[184:185]  // 000000007DF4: D3B04066 1EE03566
	v_pk_fma_f32 v[104:105], v[104:105], s[26:27], v[184:185]  // 000000007DFC: D3B04068 1EE03568
	v_pk_fma_f32 v[106:107], v[106:107], s[26:27], v[184:185]  // 000000007E04: D3B0406A 1EE0356A
	v_pk_fma_f32 v[108:109], v[108:109], s[26:27], v[184:185]  // 000000007E0C: D3B0406C 1EE0356C
	v_pk_fma_f32 v[110:111], v[110:111], s[26:27], v[184:185]  // 000000007E14: D3B0406E 1EE0356E
	v_pk_fma_f32 v[112:113], v[112:113], s[26:27], v[184:185]  // 000000007E1C: D3B04070 1EE03570
	v_pk_fma_f32 v[114:115], v[114:115], s[26:27], v[184:185]  // 000000007E24: D3B04072 1EE03572
	s_barrier                                                  // 000000007E2C: BF8A0000
	v_exp_f32_e32 v52, v52                                     // 000000007E30: 7E684134
	v_exp_f32_e32 v53, v53                                     // 000000007E34: 7E6A4135
	v_exp_f32_e32 v54, v54                                     // 000000007E38: 7E6C4136
	v_exp_f32_e32 v55, v55                                     // 000000007E3C: 7E6E4137
	v_exp_f32_e32 v56, v56                                     // 000000007E40: 7E704138
	v_exp_f32_e32 v57, v57                                     // 000000007E44: 7E724139
	v_exp_f32_e32 v58, v58                                     // 000000007E48: 7E74413A
	v_exp_f32_e32 v59, v59                                     // 000000007E4C: 7E76413B
	v_exp_f32_e32 v60, v60                                     // 000000007E50: 7E78413C
	v_exp_f32_e32 v61, v61                                     // 000000007E54: 7E7A413D
	v_exp_f32_e32 v62, v62                                     // 000000007E58: 7E7C413E
	v_exp_f32_e32 v63, v63                                     // 000000007E5C: 7E7E413F
	v_exp_f32_e32 v64, v64                                     // 000000007E60: 7E804140
	v_exp_f32_e32 v65, v65                                     // 000000007E64: 7E824141
	v_exp_f32_e32 v66, v66                                     // 000000007E68: 7E844142
	v_exp_f32_e32 v67, v67                                     // 000000007E6C: 7E864143
	v_exp_f32_e32 v68, v68                                     // 000000007E70: 7E884144
	v_exp_f32_e32 v69, v69                                     // 000000007E74: 7E8A4145
	v_exp_f32_e32 v70, v70                                     // 000000007E78: 7E8C4146
	v_exp_f32_e32 v71, v71                                     // 000000007E7C: 7E8E4147
	v_exp_f32_e32 v72, v72                                     // 000000007E80: 7E904148
	v_exp_f32_e32 v73, v73                                     // 000000007E84: 7E924149
	v_exp_f32_e32 v74, v74                                     // 000000007E88: 7E94414A
	v_exp_f32_e32 v75, v75                                     // 000000007E8C: 7E96414B
	v_exp_f32_e32 v76, v76                                     // 000000007E90: 7E98414C
	v_exp_f32_e32 v77, v77                                     // 000000007E94: 7E9A414D
	v_exp_f32_e32 v78, v78                                     // 000000007E98: 7E9C414E
	v_exp_f32_e32 v79, v79                                     // 000000007E9C: 7E9E414F
	v_exp_f32_e32 v80, v80                                     // 000000007EA0: 7EA04150
	v_exp_f32_e32 v81, v81                                     // 000000007EA4: 7EA24151
	v_exp_f32_e32 v82, v82                                     // 000000007EA8: 7EA44152
	v_exp_f32_e32 v83, v83                                     // 000000007EAC: 7EA64153
	v_exp_f32_e32 v84, v84                                     // 000000007EB0: 7EA84154
	v_exp_f32_e32 v85, v85                                     // 000000007EB4: 7EAA4155
	v_exp_f32_e32 v86, v86                                     // 000000007EB8: 7EAC4156
	v_exp_f32_e32 v87, v87                                     // 000000007EBC: 7EAE4157
	v_exp_f32_e32 v88, v88                                     // 000000007EC0: 7EB04158
	v_exp_f32_e32 v89, v89                                     // 000000007EC4: 7EB24159
	v_exp_f32_e32 v90, v90                                     // 000000007EC8: 7EB4415A
	v_exp_f32_e32 v91, v91                                     // 000000007ECC: 7EB6415B
	v_exp_f32_e32 v92, v92                                     // 000000007ED0: 7EB8415C
	v_exp_f32_e32 v93, v93                                     // 000000007ED4: 7EBA415D
	v_exp_f32_e32 v94, v94                                     // 000000007ED8: 7EBC415E
	v_exp_f32_e32 v95, v95                                     // 000000007EDC: 7EBE415F
	v_exp_f32_e32 v96, v96                                     // 000000007EE0: 7EC04160
	v_exp_f32_e32 v97, v97                                     // 000000007EE4: 7EC24161
	v_exp_f32_e32 v98, v98                                     // 000000007EE8: 7EC44162
	v_exp_f32_e32 v99, v99                                     // 000000007EEC: 7EC64163
	v_exp_f32_e32 v100, v100                                   // 000000007EF0: 7EC84164
	v_exp_f32_e32 v101, v101                                   // 000000007EF4: 7ECA4165
	v_exp_f32_e32 v102, v102                                   // 000000007EF8: 7ECC4166
	v_exp_f32_e32 v103, v103                                   // 000000007EFC: 7ECE4167
	v_exp_f32_e32 v104, v104                                   // 000000007F00: 7ED04168
	v_exp_f32_e32 v105, v105                                   // 000000007F04: 7ED24169
	v_exp_f32_e32 v106, v106                                   // 000000007F08: 7ED4416A
	v_exp_f32_e32 v107, v107                                   // 000000007F0C: 7ED6416B
	v_exp_f32_e32 v108, v108                                   // 000000007F10: 7ED8416C
	v_exp_f32_e32 v109, v109                                   // 000000007F14: 7EDA416D
	v_exp_f32_e32 v110, v110                                   // 000000007F18: 7EDC416E
	v_exp_f32_e32 v111, v111                                   // 000000007F1C: 7EDE416F
	v_exp_f32_e32 v112, v112                                   // 000000007F20: 7EE04170
	v_exp_f32_e32 v113, v113                                   // 000000007F24: 7EE24171
	v_exp_f32_e32 v114, v114                                   // 000000007F28: 7EE44172
	v_exp_f32_e32 v115, v115                                   // 000000007F2C: 7EE64173
	v_sub_f32_e32 v188, v192, v193                             // 000000007F30: 057983C0
	v_cmp_eq_u32_e64 s[66:67], v197, v192                      // 000000007F34: D0CA0042 000381C5
	s_nop 0                                                    // 000000007F3C: BF800000
	v_cndmask_b32_e64 v188, v188, 0, s[66:67]                  // 000000007F40: D10000BC 010901BC
	v_mov_b32_e32 v192, v193                                   // 000000007F48: 7F8003C1
	v_mul_f32_e32 v188, s26, v188                              // 000000007F4C: 0B79781A
	v_exp_f32_e32 v188, v188                                   // 000000007F50: 7F7841BC
	s_nop 0                                                    // 000000007F54: BF800000
	v_mul_f32_e32 v190, v188, v190                             // 000000007F58: 0B7D7DBC
	v_add_f32_e32 v190, v52, v190                              // 000000007F5C: 037D7D34
	v_add_f32_e32 v190, v53, v190                              // 000000007F60: 037D7D35
	v_add_f32_e32 v190, v54, v190                              // 000000007F64: 037D7D36
	v_add_f32_e32 v190, v55, v190                              // 000000007F68: 037D7D37
	v_add_f32_e32 v190, v56, v190                              // 000000007F6C: 037D7D38
	v_add_f32_e32 v190, v57, v190                              // 000000007F70: 037D7D39
	v_add_f32_e32 v190, v58, v190                              // 000000007F74: 037D7D3A
	v_add_f32_e32 v190, v59, v190                              // 000000007F78: 037D7D3B
	v_add_f32_e32 v190, v60, v190                              // 000000007F7C: 037D7D3C
	v_add_f32_e32 v190, v61, v190                              // 000000007F80: 037D7D3D
	v_add_f32_e32 v190, v62, v190                              // 000000007F84: 037D7D3E
	v_add_f32_e32 v190, v63, v190                              // 000000007F88: 037D7D3F
	v_add_f32_e32 v190, v64, v190                              // 000000007F8C: 037D7D40
	v_add_f32_e32 v190, v65, v190                              // 000000007F90: 037D7D41
	v_add_f32_e32 v190, v66, v190                              // 000000007F94: 037D7D42
	v_add_f32_e32 v190, v67, v190                              // 000000007F98: 037D7D43
	v_add_f32_e32 v190, v68, v190                              // 000000007F9C: 037D7D44
	v_add_f32_e32 v190, v69, v190                              // 000000007FA0: 037D7D45
	v_add_f32_e32 v190, v70, v190                              // 000000007FA4: 037D7D46
	v_add_f32_e32 v190, v71, v190                              // 000000007FA8: 037D7D47
	v_add_f32_e32 v190, v72, v190                              // 000000007FAC: 037D7D48
	v_add_f32_e32 v190, v73, v190                              // 000000007FB0: 037D7D49
	v_add_f32_e32 v190, v74, v190                              // 000000007FB4: 037D7D4A
	v_add_f32_e32 v190, v75, v190                              // 000000007FB8: 037D7D4B
	v_add_f32_e32 v190, v76, v190                              // 000000007FBC: 037D7D4C
	v_add_f32_e32 v190, v77, v190                              // 000000007FC0: 037D7D4D
	v_add_f32_e32 v190, v78, v190                              // 000000007FC4: 037D7D4E
	v_add_f32_e32 v190, v79, v190                              // 000000007FC8: 037D7D4F
	v_add_f32_e32 v190, v80, v190                              // 000000007FCC: 037D7D50
	v_add_f32_e32 v190, v81, v190                              // 000000007FD0: 037D7D51
	v_add_f32_e32 v190, v82, v190                              // 000000007FD4: 037D7D52
	v_add_f32_e32 v190, v83, v190                              // 000000007FD8: 037D7D53
	v_add_f32_e32 v190, v84, v190                              // 000000007FDC: 037D7D54
	v_add_f32_e32 v190, v85, v190                              // 000000007FE0: 037D7D55
	v_add_f32_e32 v190, v86, v190                              // 000000007FE4: 037D7D56
	v_add_f32_e32 v190, v87, v190                              // 000000007FE8: 037D7D57
	v_add_f32_e32 v190, v88, v190                              // 000000007FEC: 037D7D58
	v_add_f32_e32 v190, v89, v190                              // 000000007FF0: 037D7D59
	v_add_f32_e32 v190, v90, v190                              // 000000007FF4: 037D7D5A
	v_add_f32_e32 v190, v91, v190                              // 000000007FF8: 037D7D5B
	v_add_f32_e32 v190, v92, v190                              // 000000007FFC: 037D7D5C
	v_add_f32_e32 v190, v93, v190                              // 000000008000: 037D7D5D
	v_add_f32_e32 v190, v94, v190                              // 000000008004: 037D7D5E
	v_add_f32_e32 v190, v95, v190                              // 000000008008: 037D7D5F
	v_add_f32_e32 v190, v96, v190                              // 00000000800C: 037D7D60
	v_add_f32_e32 v190, v97, v190                              // 000000008010: 037D7D61
	v_add_f32_e32 v190, v98, v190                              // 000000008014: 037D7D62
	v_add_f32_e32 v190, v99, v190                              // 000000008018: 037D7D63
	v_add_f32_e32 v190, v100, v190                             // 00000000801C: 037D7D64
	v_add_f32_e32 v190, v101, v190                             // 000000008020: 037D7D65
	v_add_f32_e32 v190, v102, v190                             // 000000008024: 037D7D66
	v_add_f32_e32 v190, v103, v190                             // 000000008028: 037D7D67
	v_add_f32_e32 v190, v104, v190                             // 00000000802C: 037D7D68
	v_add_f32_e32 v190, v105, v190                             // 000000008030: 037D7D69
	v_add_f32_e32 v190, v106, v190                             // 000000008034: 037D7D6A
	v_add_f32_e32 v190, v107, v190                             // 000000008038: 037D7D6B
	v_add_f32_e32 v190, v108, v190                             // 00000000803C: 037D7D6C
	v_add_f32_e32 v190, v109, v190                             // 000000008040: 037D7D6D
	v_add_f32_e32 v190, v110, v190                             // 000000008044: 037D7D6E
	v_add_f32_e32 v190, v111, v190                             // 000000008048: 037D7D6F
	v_add_f32_e32 v190, v112, v190                             // 00000000804C: 037D7D70
	v_add_f32_e32 v190, v113, v190                             // 000000008050: 037D7D71
	v_add_f32_e32 v190, v114, v190                             // 000000008054: 037D7D72
	v_add_f32_e32 v190, v115, v190                             // 000000008058: 037D7D73
	v_mul_f32_e32 v116, v188, v116                             // 00000000805C: 0AE8E9BC
	v_mul_f32_e32 v117, v188, v117                             // 000000008060: 0AEAEBBC
	v_mul_f32_e32 v118, v188, v118                             // 000000008064: 0AECEDBC
	v_mul_f32_e32 v119, v188, v119                             // 000000008068: 0AEEEFBC
	v_mul_f32_e32 v120, v188, v120                             // 00000000806C: 0AF0F1BC
	v_mul_f32_e32 v121, v188, v121                             // 000000008070: 0AF2F3BC
	v_mul_f32_e32 v122, v188, v122                             // 000000008074: 0AF4F5BC
	v_mul_f32_e32 v123, v188, v123                             // 000000008078: 0AF6F7BC
	v_mul_f32_e32 v124, v188, v124                             // 00000000807C: 0AF8F9BC
	v_mul_f32_e32 v125, v188, v125                             // 000000008080: 0AFAFBBC
	v_mul_f32_e32 v126, v188, v126                             // 000000008084: 0AFCFDBC
	v_mul_f32_e32 v127, v188, v127                             // 000000008088: 0AFEFFBC
	v_mul_f32_e32 v128, v188, v128                             // 00000000808C: 0B0101BC
	v_mul_f32_e32 v129, v188, v129                             // 000000008090: 0B0303BC
	v_mul_f32_e32 v130, v188, v130                             // 000000008094: 0B0505BC
	v_mul_f32_e32 v131, v188, v131                             // 000000008098: 0B0707BC
	v_mul_f32_e32 v132, v188, v132                             // 00000000809C: 0B0909BC
	v_mul_f32_e32 v133, v188, v133                             // 0000000080A0: 0B0B0BBC
	v_mul_f32_e32 v134, v188, v134                             // 0000000080A4: 0B0D0DBC
	v_mul_f32_e32 v135, v188, v135                             // 0000000080A8: 0B0F0FBC
	v_mul_f32_e32 v136, v188, v136                             // 0000000080AC: 0B1111BC
	v_mul_f32_e32 v137, v188, v137                             // 0000000080B0: 0B1313BC
	v_mul_f32_e32 v138, v188, v138                             // 0000000080B4: 0B1515BC
	v_mul_f32_e32 v139, v188, v139                             // 0000000080B8: 0B1717BC
	v_mul_f32_e32 v140, v188, v140                             // 0000000080BC: 0B1919BC
	v_mul_f32_e32 v141, v188, v141                             // 0000000080C0: 0B1B1BBC
	v_mul_f32_e32 v142, v188, v142                             // 0000000080C4: 0B1D1DBC
	v_mul_f32_e32 v143, v188, v143                             // 0000000080C8: 0B1F1FBC
	v_mul_f32_e32 v144, v188, v144                             // 0000000080CC: 0B2121BC
	v_mul_f32_e32 v145, v188, v145                             // 0000000080D0: 0B2323BC
	v_mul_f32_e32 v146, v188, v146                             // 0000000080D4: 0B2525BC
	v_mul_f32_e32 v147, v188, v147                             // 0000000080D8: 0B2727BC
	v_mul_f32_e32 v148, v188, v148                             // 0000000080DC: 0B2929BC
	v_mul_f32_e32 v149, v188, v149                             // 0000000080E0: 0B2B2BBC
	v_mul_f32_e32 v150, v188, v150                             // 0000000080E4: 0B2D2DBC
	v_mul_f32_e32 v151, v188, v151                             // 0000000080E8: 0B2F2FBC
	v_mul_f32_e32 v152, v188, v152                             // 0000000080EC: 0B3131BC
	v_mul_f32_e32 v153, v188, v153                             // 0000000080F0: 0B3333BC
	v_mul_f32_e32 v154, v188, v154                             // 0000000080F4: 0B3535BC
	v_mul_f32_e32 v155, v188, v155                             // 0000000080F8: 0B3737BC
	v_mul_f32_e32 v156, v188, v156                             // 0000000080FC: 0B3939BC
	v_mul_f32_e32 v157, v188, v157                             // 000000008100: 0B3B3BBC
	v_mul_f32_e32 v158, v188, v158                             // 000000008104: 0B3D3DBC
	v_mul_f32_e32 v159, v188, v159                             // 000000008108: 0B3F3FBC
	v_mul_f32_e32 v160, v188, v160                             // 00000000810C: 0B4141BC
	v_mul_f32_e32 v161, v188, v161                             // 000000008110: 0B4343BC
	v_mul_f32_e32 v162, v188, v162                             // 000000008114: 0B4545BC
	v_mul_f32_e32 v163, v188, v163                             // 000000008118: 0B4747BC
	v_mul_f32_e32 v164, v188, v164                             // 00000000811C: 0B4949BC
	v_mul_f32_e32 v165, v188, v165                             // 000000008120: 0B4B4BBC
	v_mul_f32_e32 v166, v188, v166                             // 000000008124: 0B4D4DBC
	v_mul_f32_e32 v167, v188, v167                             // 000000008128: 0B4F4FBC
	v_mul_f32_e32 v168, v188, v168                             // 00000000812C: 0B5151BC
	v_mul_f32_e32 v169, v188, v169                             // 000000008130: 0B5353BC
	v_mul_f32_e32 v170, v188, v170                             // 000000008134: 0B5555BC
	v_mul_f32_e32 v171, v188, v171                             // 000000008138: 0B5757BC
	v_mul_f32_e32 v172, v188, v172                             // 00000000813C: 0B5959BC
	v_mul_f32_e32 v173, v188, v173                             // 000000008140: 0B5B5BBC
	v_mul_f32_e32 v174, v188, v174                             // 000000008144: 0B5D5DBC
	v_mul_f32_e32 v175, v188, v175                             // 000000008148: 0B5F5FBC
	v_mul_f32_e32 v176, v188, v176                             // 00000000814C: 0B6161BC
	v_mul_f32_e32 v177, v188, v177                             // 000000008150: 0B6363BC
	v_mul_f32_e32 v178, v188, v178                             // 000000008154: 0B6565BC
	v_mul_f32_e32 v179, v188, v179                             // 000000008158: 0B6767BC
	v_mov_b32_e32 v189, v188                                   // 00000000815C: 7F7A03BC
	s_barrier                                                  // 000000008160: BF8A0000
	v_cvt_pk_fp8_f32 v52, v52, v53                             // 000000008164: D2A20034 00026B34
	v_cvt_pk_fp8_f32 v52, v54, v55 op_sel:[0,0,1]              // 00000000816C: D2A24034 00026F36
	v_cvt_pk_fp8_f32 v53, v56, v57                             // 000000008174: D2A20035 00027338
	v_cvt_pk_fp8_f32 v53, v58, v59 op_sel:[0,0,1]              // 00000000817C: D2A24035 0002773A
	v_cvt_pk_fp8_f32 v54, v60, v61                             // 000000008184: D2A20036 00027B3C
	v_cvt_pk_fp8_f32 v54, v62, v63 op_sel:[0,0,1]              // 00000000818C: D2A24036 00027F3E
	v_cvt_pk_fp8_f32 v55, v64, v65                             // 000000008194: D2A20037 00028340
	v_cvt_pk_fp8_f32 v55, v66, v67 op_sel:[0,0,1]              // 00000000819C: D2A24037 00028742
	v_cvt_pk_fp8_f32 v56, v68, v69                             // 0000000081A4: D2A20038 00028B44
	v_cvt_pk_fp8_f32 v56, v70, v71 op_sel:[0,0,1]              // 0000000081AC: D2A24038 00028F46
	v_cvt_pk_fp8_f32 v57, v72, v73                             // 0000000081B4: D2A20039 00029348
	v_cvt_pk_fp8_f32 v57, v74, v75 op_sel:[0,0,1]              // 0000000081BC: D2A24039 0002974A
	v_cvt_pk_fp8_f32 v58, v76, v77                             // 0000000081C4: D2A2003A 00029B4C
	v_cvt_pk_fp8_f32 v58, v78, v79 op_sel:[0,0,1]              // 0000000081CC: D2A2403A 00029F4E
	v_cvt_pk_fp8_f32 v59, v80, v81                             // 0000000081D4: D2A2003B 0002A350
	v_cvt_pk_fp8_f32 v59, v82, v83 op_sel:[0,0,1]              // 0000000081DC: D2A2403B 0002A752
	v_cvt_pk_fp8_f32 v60, v84, v85                             // 0000000081E4: D2A2003C 0002AB54
	v_cvt_pk_fp8_f32 v60, v86, v87 op_sel:[0,0,1]              // 0000000081EC: D2A2403C 0002AF56
	v_cvt_pk_fp8_f32 v61, v88, v89                             // 0000000081F4: D2A2003D 0002B358
	v_cvt_pk_fp8_f32 v61, v90, v91 op_sel:[0,0,1]              // 0000000081FC: D2A2403D 0002B75A
	v_cvt_pk_fp8_f32 v62, v92, v93                             // 000000008204: D2A2003E 0002BB5C
	v_cvt_pk_fp8_f32 v62, v94, v95 op_sel:[0,0,1]              // 00000000820C: D2A2403E 0002BF5E
	v_cvt_pk_fp8_f32 v63, v96, v97                             // 000000008214: D2A2003F 0002C360
	v_cvt_pk_fp8_f32 v63, v98, v99 op_sel:[0,0,1]              // 00000000821C: D2A2403F 0002C762
	v_cvt_pk_fp8_f32 v64, v100, v101                           // 000000008224: D2A20040 0002CB64
	v_cvt_pk_fp8_f32 v64, v102, v103 op_sel:[0,0,1]            // 00000000822C: D2A24040 0002CF66
	v_cvt_pk_fp8_f32 v65, v104, v105                           // 000000008234: D2A20041 0002D368
	v_cvt_pk_fp8_f32 v65, v106, v107 op_sel:[0,0,1]            // 00000000823C: D2A24041 0002D76A
	v_cvt_pk_fp8_f32 v66, v108, v109                           // 000000008244: D2A20042 0002DB6C
	v_cvt_pk_fp8_f32 v66, v110, v111 op_sel:[0,0,1]            // 00000000824C: D2A24042 0002DF6E
	v_cvt_pk_fp8_f32 v67, v112, v113                           // 000000008254: D2A20043 0002E370
	v_cvt_pk_fp8_f32 v67, v114, v115 op_sel:[0,0,1]            // 00000000825C: D2A24043 0002E772
	s_barrier                                                  // 000000008264: BF8A0000
	s_waitcnt vmcnt(0)                                         // 000000008268: BF8C0F70
	s_waitcnt lgkmcnt(8)                                       // 00000000826C: BF8CC87F
	s_setprio 1                                                // 000000008270: BF8F0001
	s_barrier                                                  // 000000008274: BF8A0000
	v_mfma_f32_32x32x64_f8f6f4 v[116:131], v[20:27], v[52:59], v[116:131]// 000000008278: D3AE0074 05D26914
	ds_read_b64_tr_b8 v[36:37], v219 offset:16672              // 000000008280: D9C44120 240000DB
	ds_read_b64_tr_b8 v[38:39], v219 offset:16928              // 000000008288: D9C44220 260000DB
	ds_read_b64_tr_b8 v[40:41], v219 offset:17184              // 000000008290: D9C44320 280000DB
	ds_read_b64_tr_b8 v[42:43], v219 offset:17440              // 000000008298: D9C44420 2A0000DB
	s_waitcnt lgkmcnt(8)                                       // 0000000082A0: BF8CC87F
	v_mfma_f32_32x32x64_f8f6f4 v[116:131], v[28:35], v[60:67], v[116:131]// 0000000082A4: D3AE0074 05D2791C
	ds_read_b64_tr_b8 v[44:45], v219 offset:24992              // 0000000082AC: D9C461A0 2C0000DB
	ds_read_b64_tr_b8 v[46:47], v219 offset:25248              // 0000000082B4: D9C462A0 2E0000DB
	ds_read_b64_tr_b8 v[48:49], v219 offset:25504              // 0000000082BC: D9C463A0 300000DB
	ds_read_b64_tr_b8 v[50:51], v219 offset:25760              // 0000000082C4: D9C464A0 320000DB
	s_waitcnt lgkmcnt(8)                                       // 0000000082CC: BF8CC87F
	v_mfma_f32_32x32x64_f8f6f4 v[132:147], v[36:43], v[52:59], v[132:147]// 0000000082D0: D3AE0084 06126924
	ds_read_b64_tr_b8 v[20:21], v219 offset:16704              // 0000000082D8: D9C44140 140000DB
	ds_read_b64_tr_b8 v[22:23], v219 offset:16960              // 0000000082E0: D9C44240 160000DB
	ds_read_b64_tr_b8 v[24:25], v219 offset:17216              // 0000000082E8: D9C44340 180000DB
	ds_read_b64_tr_b8 v[26:27], v219 offset:17472              // 0000000082F0: D9C44440 1A0000DB
	s_waitcnt lgkmcnt(8)                                       // 0000000082F8: BF8CC87F
	v_mfma_f32_32x32x64_f8f6f4 v[132:147], v[44:51], v[60:67], v[132:147]// 0000000082FC: D3AE0084 0612792C
	ds_read_b64_tr_b8 v[28:29], v219 offset:25024              // 000000008304: D9C461C0 1C0000DB
	ds_read_b64_tr_b8 v[30:31], v219 offset:25280              // 00000000830C: D9C462C0 1E0000DB
	ds_read_b64_tr_b8 v[32:33], v219 offset:25536              // 000000008314: D9C463C0 200000DB
	ds_read_b64_tr_b8 v[34:35], v219 offset:25792              // 00000000831C: D9C464C0 220000DB
	s_waitcnt lgkmcnt(8)                                       // 000000008324: BF8CC87F
	v_mfma_f32_32x32x64_f8f6f4 v[148:163], v[20:27], v[52:59], v[148:163]// 000000008328: D3AE0094 06526914
	ds_read_b64_tr_b8 v[36:37], v219 offset:16736              // 000000008330: D9C44160 240000DB
	ds_read_b64_tr_b8 v[38:39], v219 offset:16992              // 000000008338: D9C44260 260000DB
	ds_read_b64_tr_b8 v[40:41], v219 offset:17248              // 000000008340: D9C44360 280000DB
	ds_read_b64_tr_b8 v[42:43], v219 offset:17504              // 000000008348: D9C44460 2A0000DB
	s_waitcnt lgkmcnt(8)                                       // 000000008350: BF8CC87F
	v_mfma_f32_32x32x64_f8f6f4 v[148:163], v[28:35], v[60:67], v[148:163]// 000000008354: D3AE0094 0652791C
	ds_read_b64_tr_b8 v[44:45], v219 offset:25056              // 00000000835C: D9C461E0 2C0000DB
	ds_read_b64_tr_b8 v[46:47], v219 offset:25312              // 000000008364: D9C462E0 2E0000DB
	ds_read_b64_tr_b8 v[48:49], v219 offset:25568              // 00000000836C: D9C463E0 300000DB
	ds_read_b64_tr_b8 v[50:51], v219 offset:25824              // 000000008374: D9C464E0 320000DB
	s_waitcnt lgkmcnt(8)                                       // 00000000837C: BF8CC87F
	v_mfma_f32_32x32x64_f8f6f4 v[164:179], v[36:43], v[52:59], v[164:179]// 000000008380: D3AE00A4 06926924
	ds_read_b128 v[20:23], v218                                // 000000008388: D9FE0000 140000DA
	ds_read_b128 v[24:27], v218 offset:32                      // 000000008390: D9FE0020 180000DA
	s_waitcnt lgkmcnt(6)                                       // 000000008398: BF8CC67F
	v_mfma_f32_32x32x64_f8f6f4 v[164:179], v[44:51], v[60:67], v[164:179]// 00000000839C: D3AE00A4 0692792C
	ds_read_b128 v[28:31], v218 offset:4160                    // 0000000083A4: D9FE1040 1C0000DA
	ds_read_b128 v[32:35], v218 offset:4192                    // 0000000083AC: D9FE1060 200000DA
	s_addk_i32 s68, 0x80                                       // 0000000083B4: B7440080
	s_branch label_2D40                                        // 0000000083B8: BF82F921

00000000000083bc <label_48BC>:
	s_cmp_lt_i32 s68, s43                                      // 0000000083BC: BF042B44
	s_cbranch_scc0 label_6480                                  // 0000000083C0: BF8406EF
	s_waitcnt lgkmcnt(2)                                       // 0000000083C4: BF8CC27F
	v_mfma_f32_32x32x64_f8f6f4 v[52:67], v[20:27], v[4:11], 0  // 0000000083C8: D3AE0034 02020914
	v_mul_i32_i24_dpp v184, v182, v223 quad_perm:[0,0,0,0] row_mask:0xf bank_mask:0xf// 0000000083D0: 0D71BEFA FF0000B6
	v_mul_i32_i24_dpp v185, v182, v223 quad_perm:[1,1,1,1] row_mask:0xf bank_mask:0xf// 0000000083D8: 0D73BEFA FF0055B6
	v_mul_i32_i24_dpp v186, v182, v223 quad_perm:[2,2,2,2] row_mask:0xf bank_mask:0xf// 0000000083E0: 0D75BEFA FF00AAB6
	v_mul_i32_i24_dpp v187, v182, v223 quad_perm:[3,3,3,3] row_mask:0xf bank_mask:0xf// 0000000083E8: 0D77BEFA FF00FFB6
	v_add_u32_e32 v214, v213, v184                             // 0000000083F0: 69AD71D5
	v_add_u32_e32 v215, v213, v185                             // 0000000083F4: 69AF73D5
	v_add_u32_e32 v216, v213, v186                             // 0000000083F8: 69B175D5
	v_add_u32_e32 v217, v213, v187                             // 0000000083FC: 69B377D5
	ds_read_b128 v[36:39], v218 offset:512                     // 000000008400: D9FE0200 240000DA
	ds_read_b128 v[40:43], v218 offset:544                     // 000000008408: D9FE0220 280000DA
	s_waitcnt lgkmcnt(2)                                       // 000000008410: BF8CC27F
	v_mfma_f32_32x32x64_f8f6f4 v[52:67], v[28:35], v[12:19], v[52:67]// 000000008414: D3AE0034 04D2191C
	s_add_u32 m0, s72, 0x4100                                  // 00000000841C: 807CFF48 00004100
	buffer_load_dwordx4 v214, s[16:19], 0 offen lds            // 000000008424: E05D1000 800400D6
	ds_read_b128 v[44:47], v218 offset:4672                    // 00000000842C: D9FE1240 2C0000DA
	ds_read_b128 v[48:51], v218 offset:4704                    // 000000008434: D9FE1260 300000DA
	s_waitcnt lgkmcnt(2)                                       // 00000000843C: BF8CC27F
	v_mfma_f32_32x32x64_f8f6f4 v[68:83], v[36:43], v[4:11], 0  // 000000008440: D3AE0044 02020924
	s_add_u32 m0, s72, 0x4510                                  // 000000008448: 807CFF48 00004510
	buffer_load_dwordx4 v215, s[16:19], 0 offen lds            // 000000008450: E05D1000 800400D7
	ds_read_b128 v[20:23], v218 offset:8320                    // 000000008458: D9FE2080 140000DA
	ds_read_b128 v[24:27], v218 offset:8352                    // 000000008460: D9FE20A0 180000DA
	s_waitcnt lgkmcnt(2)                                       // 000000008468: BF8CC27F
	v_mfma_f32_32x32x64_f8f6f4 v[68:83], v[44:51], v[12:19], v[68:83]// 00000000846C: D3AE0044 0512192C
	s_add_u32 m0, s72, 0x4920                                  // 000000008474: 807CFF48 00004920
	buffer_load_dwordx4 v216, s[16:19], 0 offen lds            // 00000000847C: E05D1000 800400D8
	ds_read_b128 v[28:31], v218 offset:12480                   // 000000008484: D9FE30C0 1C0000DA
	ds_read_b128 v[32:35], v218 offset:12512                   // 00000000848C: D9FE30E0 200000DA
	s_waitcnt lgkmcnt(2)                                       // 000000008494: BF8CC27F
	v_mfma_f32_32x32x64_f8f6f4 v[84:99], v[20:27], v[4:11], 0  // 000000008498: D3AE0054 02020914
	s_add_u32 m0, s72, 0x4d30                                  // 0000000084A0: 807CFF48 00004D30
	buffer_load_dwordx4 v217, s[16:19], 0 offen lds            // 0000000084A8: E05D1000 800400D9
	ds_read_b128 v[36:39], v218 offset:8832                    // 0000000084B0: D9FE2280 240000DA
	ds_read_b128 v[40:43], v218 offset:8864                    // 0000000084B8: D9FE22A0 280000DA
	s_waitcnt lgkmcnt(2)                                       // 0000000084C0: BF8CC27F
	v_mfma_f32_32x32x64_f8f6f4 v[84:99], v[28:35], v[12:19], v[84:99]// 0000000084C4: D3AE0054 0552191C
	v_lshrrev_b32_e32 v181, 2, v209                            // 0000000084CC: 216BA282
	ds_read_b128 v[44:47], v218 offset:12992                   // 0000000084D0: D9FE32C0 2C0000DA
	ds_read_b128 v[48:51], v218 offset:13024                   // 0000000084D8: D9FE32E0 300000DA
	s_waitcnt lgkmcnt(2)                                       // 0000000084E0: BF8CC27F
	v_mfma_f32_32x32x64_f8f6f4 v[100:115], v[36:43], v[4:11], 0// 0000000084E4: D3AE0064 02020924
	v_add_u32_e32 v184, 0x200, v209                            // 0000000084EC: 6971A2FF 00000200
	v_lshrrev_b32_e32 v182, 2, v184                            // 0000000084F4: 216D7082
	v_add_u32_e32 v209, 0x400, v209                            // 0000000084F8: 69A3A2FF 00000400
	ds_read_b64_tr_b8 v[20:21], v219                           // 000000008500: D9C40000 140000DB
	ds_read_b64_tr_b8 v[22:23], v219 offset:256                // 000000008508: D9C40100 160000DB
	ds_read_b64_tr_b8 v[24:25], v219 offset:512                // 000000008510: D9C40200 180000DB
	ds_read_b64_tr_b8 v[26:27], v219 offset:768                // 000000008518: D9C40300 1A0000DB
	s_waitcnt lgkmcnt(4)                                       // 000000008520: BF8CC47F
	v_mfma_f32_32x32x64_f8f6f4 v[100:115], v[44:51], v[12:19], v[100:115]// 000000008524: D3AE0064 0592192C
	ds_read_b64_tr_b8 v[28:29], v219 offset:8320               // 00000000852C: D9C42080 1C0000DB
	ds_read_b64_tr_b8 v[30:31], v219 offset:8576               // 000000008534: D9C42180 1E0000DB
	ds_read_b64_tr_b8 v[32:33], v219 offset:8832               // 00000000853C: D9C42280 200000DB
	ds_read_b64_tr_b8 v[34:35], v219 offset:9088               // 000000008544: D9C42380 220000DB
	s_nop 5                                                    // 00000000854C: BF800005
	s_barrier                                                  // 000000008550: BF8A0000
	s_setprio 0                                                // 000000008554: BF8F0000
	s_barrier                                                  // 000000008558: BF8A0000
	v_add_u32_e32 v184, s68, v195                              // 00000000855C: 69718644
	v_add_u32_e32 v185, 0, v184                                // 000000008560: 69737080
	v_cmp_lt_i32_e32 vcc, v185, v194                           // 000000008564: 7D8385B9
	s_nop 0                                                    // 000000008568: BF800000
	v_cndmask_b32_e32 v52, v197, v52, vcc                      // 00000000856C: 006869C5
	v_add_u32_e32 v185, 1, v184                                // 000000008570: 69737081
	v_cmp_lt_i32_e32 vcc, v185, v194                           // 000000008574: 7D8385B9
	s_nop 0                                                    // 000000008578: BF800000
	v_cndmask_b32_e32 v53, v197, v53, vcc                      // 00000000857C: 006A6BC5
	v_add_u32_e32 v185, 2, v184                                // 000000008580: 69737082
	v_cmp_lt_i32_e32 vcc, v185, v194                           // 000000008584: 7D8385B9
	s_nop 0                                                    // 000000008588: BF800000
	v_cndmask_b32_e32 v54, v197, v54, vcc                      // 00000000858C: 006C6DC5
	v_add_u32_e32 v185, 3, v184                                // 000000008590: 69737083
	v_cmp_lt_i32_e32 vcc, v185, v194                           // 000000008594: 7D8385B9
	s_nop 0                                                    // 000000008598: BF800000
	v_cndmask_b32_e32 v55, v197, v55, vcc                      // 00000000859C: 006E6FC5
	v_add_u32_e32 v185, 8, v184                                // 0000000085A0: 69737088
	v_cmp_lt_i32_e32 vcc, v185, v194                           // 0000000085A4: 7D8385B9
	s_nop 0                                                    // 0000000085A8: BF800000
	v_cndmask_b32_e32 v56, v197, v56, vcc                      // 0000000085AC: 007071C5
	v_add_u32_e32 v185, 9, v184                                // 0000000085B0: 69737089
	v_cmp_lt_i32_e32 vcc, v185, v194                           // 0000000085B4: 7D8385B9
	s_nop 0                                                    // 0000000085B8: BF800000
	v_cndmask_b32_e32 v57, v197, v57, vcc                      // 0000000085BC: 007273C5
	v_add_u32_e32 v185, 10, v184                               // 0000000085C0: 6973708A
	v_cmp_lt_i32_e32 vcc, v185, v194                           // 0000000085C4: 7D8385B9
	s_nop 0                                                    // 0000000085C8: BF800000
	v_cndmask_b32_e32 v58, v197, v58, vcc                      // 0000000085CC: 007475C5
	v_add_u32_e32 v185, 11, v184                               // 0000000085D0: 6973708B
	v_cmp_lt_i32_e32 vcc, v185, v194                           // 0000000085D4: 7D8385B9
	s_nop 0                                                    // 0000000085D8: BF800000
	v_cndmask_b32_e32 v59, v197, v59, vcc                      // 0000000085DC: 007677C5
	v_add_u32_e32 v185, 16, v184                               // 0000000085E0: 69737090
	v_cmp_lt_i32_e32 vcc, v185, v194                           // 0000000085E4: 7D8385B9
	s_nop 0                                                    // 0000000085E8: BF800000
	v_cndmask_b32_e32 v60, v197, v60, vcc                      // 0000000085EC: 007879C5
	v_add_u32_e32 v185, 17, v184                               // 0000000085F0: 69737091
	v_cmp_lt_i32_e32 vcc, v185, v194                           // 0000000085F4: 7D8385B9
	s_nop 0                                                    // 0000000085F8: BF800000
	v_cndmask_b32_e32 v61, v197, v61, vcc                      // 0000000085FC: 007A7BC5
	v_add_u32_e32 v185, 18, v184                               // 000000008600: 69737092
	v_cmp_lt_i32_e32 vcc, v185, v194                           // 000000008604: 7D8385B9
	s_nop 0                                                    // 000000008608: BF800000
	v_cndmask_b32_e32 v62, v197, v62, vcc                      // 00000000860C: 007C7DC5
	v_add_u32_e32 v185, 19, v184                               // 000000008610: 69737093
	v_cmp_lt_i32_e32 vcc, v185, v194                           // 000000008614: 7D8385B9
	s_nop 0                                                    // 000000008618: BF800000
	v_cndmask_b32_e32 v63, v197, v63, vcc                      // 00000000861C: 007E7FC5
	v_add_u32_e32 v185, 24, v184                               // 000000008620: 69737098
	v_cmp_lt_i32_e32 vcc, v185, v194                           // 000000008624: 7D8385B9
	s_nop 0                                                    // 000000008628: BF800000
	v_cndmask_b32_e32 v64, v197, v64, vcc                      // 00000000862C: 008081C5
	v_add_u32_e32 v185, 25, v184                               // 000000008630: 69737099
	v_cmp_lt_i32_e32 vcc, v185, v194                           // 000000008634: 7D8385B9
	s_nop 0                                                    // 000000008638: BF800000
	v_cndmask_b32_e32 v65, v197, v65, vcc                      // 00000000863C: 008283C5
	v_add_u32_e32 v185, 26, v184                               // 000000008640: 6973709A
	v_cmp_lt_i32_e32 vcc, v185, v194                           // 000000008644: 7D8385B9
	s_nop 0                                                    // 000000008648: BF800000
	v_cndmask_b32_e32 v66, v197, v66, vcc                      // 00000000864C: 008485C5
	v_add_u32_e32 v185, 27, v184                               // 000000008650: 6973709B
	v_cmp_lt_i32_e32 vcc, v185, v194                           // 000000008654: 7D8385B9
	s_nop 0                                                    // 000000008658: BF800000
	v_cndmask_b32_e32 v67, v197, v67, vcc                      // 00000000865C: 008687C5
	v_add_u32_e32 v185, 32, v184                               // 000000008660: 697370A0
	v_cmp_lt_i32_e32 vcc, v185, v194                           // 000000008664: 7D8385B9
	s_nop 0                                                    // 000000008668: BF800000
	v_cndmask_b32_e32 v68, v197, v68, vcc                      // 00000000866C: 008889C5
	v_add_u32_e32 v185, 33, v184                               // 000000008670: 697370A1
	v_cmp_lt_i32_e32 vcc, v185, v194                           // 000000008674: 7D8385B9
	s_nop 0                                                    // 000000008678: BF800000
	v_cndmask_b32_e32 v69, v197, v69, vcc                      // 00000000867C: 008A8BC5
	v_add_u32_e32 v185, 34, v184                               // 000000008680: 697370A2
	v_cmp_lt_i32_e32 vcc, v185, v194                           // 000000008684: 7D8385B9
	s_nop 0                                                    // 000000008688: BF800000
	v_cndmask_b32_e32 v70, v197, v70, vcc                      // 00000000868C: 008C8DC5
	v_add_u32_e32 v185, 35, v184                               // 000000008690: 697370A3
	v_cmp_lt_i32_e32 vcc, v185, v194                           // 000000008694: 7D8385B9
	s_nop 0                                                    // 000000008698: BF800000
	v_cndmask_b32_e32 v71, v197, v71, vcc                      // 00000000869C: 008E8FC5
	v_add_u32_e32 v185, 40, v184                               // 0000000086A0: 697370A8
	v_cmp_lt_i32_e32 vcc, v185, v194                           // 0000000086A4: 7D8385B9
	s_nop 0                                                    // 0000000086A8: BF800000
	v_cndmask_b32_e32 v72, v197, v72, vcc                      // 0000000086AC: 009091C5
	v_add_u32_e32 v185, 41, v184                               // 0000000086B0: 697370A9
	v_cmp_lt_i32_e32 vcc, v185, v194                           // 0000000086B4: 7D8385B9
	s_nop 0                                                    // 0000000086B8: BF800000
	v_cndmask_b32_e32 v73, v197, v73, vcc                      // 0000000086BC: 009293C5
	v_add_u32_e32 v185, 42, v184                               // 0000000086C0: 697370AA
	v_cmp_lt_i32_e32 vcc, v185, v194                           // 0000000086C4: 7D8385B9
	s_nop 0                                                    // 0000000086C8: BF800000
	v_cndmask_b32_e32 v74, v197, v74, vcc                      // 0000000086CC: 009495C5
	v_add_u32_e32 v185, 43, v184                               // 0000000086D0: 697370AB
	v_cmp_lt_i32_e32 vcc, v185, v194                           // 0000000086D4: 7D8385B9
	s_nop 0                                                    // 0000000086D8: BF800000
	v_cndmask_b32_e32 v75, v197, v75, vcc                      // 0000000086DC: 009697C5
	v_add_u32_e32 v185, 48, v184                               // 0000000086E0: 697370B0
	v_cmp_lt_i32_e32 vcc, v185, v194                           // 0000000086E4: 7D8385B9
	s_nop 0                                                    // 0000000086E8: BF800000
	v_cndmask_b32_e32 v76, v197, v76, vcc                      // 0000000086EC: 009899C5
	v_add_u32_e32 v185, 49, v184                               // 0000000086F0: 697370B1
	v_cmp_lt_i32_e32 vcc, v185, v194                           // 0000000086F4: 7D8385B9
	s_nop 0                                                    // 0000000086F8: BF800000
	v_cndmask_b32_e32 v77, v197, v77, vcc                      // 0000000086FC: 009A9BC5
	v_add_u32_e32 v185, 50, v184                               // 000000008700: 697370B2
	v_cmp_lt_i32_e32 vcc, v185, v194                           // 000000008704: 7D8385B9
	s_nop 0                                                    // 000000008708: BF800000
	v_cndmask_b32_e32 v78, v197, v78, vcc                      // 00000000870C: 009C9DC5
	v_add_u32_e32 v185, 51, v184                               // 000000008710: 697370B3
	v_cmp_lt_i32_e32 vcc, v185, v194                           // 000000008714: 7D8385B9
	s_nop 0                                                    // 000000008718: BF800000
	v_cndmask_b32_e32 v79, v197, v79, vcc                      // 00000000871C: 009E9FC5
	v_add_u32_e32 v185, 56, v184                               // 000000008720: 697370B8
	v_cmp_lt_i32_e32 vcc, v185, v194                           // 000000008724: 7D8385B9
	s_nop 0                                                    // 000000008728: BF800000
	v_cndmask_b32_e32 v80, v197, v80, vcc                      // 00000000872C: 00A0A1C5
	v_add_u32_e32 v185, 57, v184                               // 000000008730: 697370B9
	v_cmp_lt_i32_e32 vcc, v185, v194                           // 000000008734: 7D8385B9
	s_nop 0                                                    // 000000008738: BF800000
	v_cndmask_b32_e32 v81, v197, v81, vcc                      // 00000000873C: 00A2A3C5
	v_add_u32_e32 v185, 58, v184                               // 000000008740: 697370BA
	v_cmp_lt_i32_e32 vcc, v185, v194                           // 000000008744: 7D8385B9
	s_nop 0                                                    // 000000008748: BF800000
	v_cndmask_b32_e32 v82, v197, v82, vcc                      // 00000000874C: 00A4A5C5
	v_add_u32_e32 v185, 59, v184                               // 000000008750: 697370BB
	v_cmp_lt_i32_e32 vcc, v185, v194                           // 000000008754: 7D8385B9
	s_nop 0                                                    // 000000008758: BF800000
	v_cndmask_b32_e32 v83, v197, v83, vcc                      // 00000000875C: 00A6A7C5
	v_add_u32_e32 v185, 64, v184                               // 000000008760: 697370C0
	v_cmp_lt_i32_e32 vcc, v185, v194                           // 000000008764: 7D8385B9
	s_nop 0                                                    // 000000008768: BF800000
	v_cndmask_b32_e32 v84, v197, v84, vcc                      // 00000000876C: 00A8A9C5
	v_add_u32_e32 v185, 0x41, v184                             // 000000008770: 697370FF 00000041
	v_cmp_lt_i32_e32 vcc, v185, v194                           // 000000008778: 7D8385B9
	s_nop 0                                                    // 00000000877C: BF800000
	v_cndmask_b32_e32 v85, v197, v85, vcc                      // 000000008780: 00AAABC5
	v_add_u32_e32 v185, 0x42, v184                             // 000000008784: 697370FF 00000042
	v_cmp_lt_i32_e32 vcc, v185, v194                           // 00000000878C: 7D8385B9
	s_nop 0                                                    // 000000008790: BF800000
	v_cndmask_b32_e32 v86, v197, v86, vcc                      // 000000008794: 00ACADC5
	v_add_u32_e32 v185, 0x43, v184                             // 000000008798: 697370FF 00000043
	v_cmp_lt_i32_e32 vcc, v185, v194                           // 0000000087A0: 7D8385B9
	s_nop 0                                                    // 0000000087A4: BF800000
	v_cndmask_b32_e32 v87, v197, v87, vcc                      // 0000000087A8: 00AEAFC5
	v_add_u32_e32 v185, 0x48, v184                             // 0000000087AC: 697370FF 00000048
	v_cmp_lt_i32_e32 vcc, v185, v194                           // 0000000087B4: 7D8385B9
	s_nop 0                                                    // 0000000087B8: BF800000
	v_cndmask_b32_e32 v88, v197, v88, vcc                      // 0000000087BC: 00B0B1C5
	v_add_u32_e32 v185, 0x49, v184                             // 0000000087C0: 697370FF 00000049
	v_cmp_lt_i32_e32 vcc, v185, v194                           // 0000000087C8: 7D8385B9
	s_nop 0                                                    // 0000000087CC: BF800000
	v_cndmask_b32_e32 v89, v197, v89, vcc                      // 0000000087D0: 00B2B3C5
	v_add_u32_e32 v185, 0x4a, v184                             // 0000000087D4: 697370FF 0000004A
	v_cmp_lt_i32_e32 vcc, v185, v194                           // 0000000087DC: 7D8385B9
	s_nop 0                                                    // 0000000087E0: BF800000
	v_cndmask_b32_e32 v90, v197, v90, vcc                      // 0000000087E4: 00B4B5C5
	v_add_u32_e32 v185, 0x4b, v184                             // 0000000087E8: 697370FF 0000004B
	v_cmp_lt_i32_e32 vcc, v185, v194                           // 0000000087F0: 7D8385B9
	s_nop 0                                                    // 0000000087F4: BF800000
	v_cndmask_b32_e32 v91, v197, v91, vcc                      // 0000000087F8: 00B6B7C5
	v_add_u32_e32 v185, 0x50, v184                             // 0000000087FC: 697370FF 00000050
	v_cmp_lt_i32_e32 vcc, v185, v194                           // 000000008804: 7D8385B9
	s_nop 0                                                    // 000000008808: BF800000
	v_cndmask_b32_e32 v92, v197, v92, vcc                      // 00000000880C: 00B8B9C5
	v_add_u32_e32 v185, 0x51, v184                             // 000000008810: 697370FF 00000051
	v_cmp_lt_i32_e32 vcc, v185, v194                           // 000000008818: 7D8385B9
	s_nop 0                                                    // 00000000881C: BF800000
	v_cndmask_b32_e32 v93, v197, v93, vcc                      // 000000008820: 00BABBC5
	v_add_u32_e32 v185, 0x52, v184                             // 000000008824: 697370FF 00000052
	v_cmp_lt_i32_e32 vcc, v185, v194                           // 00000000882C: 7D8385B9
	s_nop 0                                                    // 000000008830: BF800000
	v_cndmask_b32_e32 v94, v197, v94, vcc                      // 000000008834: 00BCBDC5
	v_add_u32_e32 v185, 0x53, v184                             // 000000008838: 697370FF 00000053
	v_cmp_lt_i32_e32 vcc, v185, v194                           // 000000008840: 7D8385B9
	s_nop 0                                                    // 000000008844: BF800000
	v_cndmask_b32_e32 v95, v197, v95, vcc                      // 000000008848: 00BEBFC5
	v_add_u32_e32 v185, 0x58, v184                             // 00000000884C: 697370FF 00000058
	v_cmp_lt_i32_e32 vcc, v185, v194                           // 000000008854: 7D8385B9
	s_nop 0                                                    // 000000008858: BF800000
	v_cndmask_b32_e32 v96, v197, v96, vcc                      // 00000000885C: 00C0C1C5
	v_add_u32_e32 v185, 0x59, v184                             // 000000008860: 697370FF 00000059
	v_cmp_lt_i32_e32 vcc, v185, v194                           // 000000008868: 7D8385B9
	s_nop 0                                                    // 00000000886C: BF800000
	v_cndmask_b32_e32 v97, v197, v97, vcc                      // 000000008870: 00C2C3C5
	v_add_u32_e32 v185, 0x5a, v184                             // 000000008874: 697370FF 0000005A
	v_cmp_lt_i32_e32 vcc, v185, v194                           // 00000000887C: 7D8385B9
	s_nop 0                                                    // 000000008880: BF800000
	v_cndmask_b32_e32 v98, v197, v98, vcc                      // 000000008884: 00C4C5C5
	v_add_u32_e32 v185, 0x5b, v184                             // 000000008888: 697370FF 0000005B
	v_cmp_lt_i32_e32 vcc, v185, v194                           // 000000008890: 7D8385B9
	s_nop 0                                                    // 000000008894: BF800000
	v_cndmask_b32_e32 v99, v197, v99, vcc                      // 000000008898: 00C6C7C5
	v_add_u32_e32 v185, 0x60, v184                             // 00000000889C: 697370FF 00000060
	v_cmp_lt_i32_e32 vcc, v185, v194                           // 0000000088A4: 7D8385B9
	s_nop 0                                                    // 0000000088A8: BF800000
	v_cndmask_b32_e32 v100, v197, v100, vcc                    // 0000000088AC: 00C8C9C5
	v_add_u32_e32 v185, 0x61, v184                             // 0000000088B0: 697370FF 00000061
	v_cmp_lt_i32_e32 vcc, v185, v194                           // 0000000088B8: 7D8385B9
	s_nop 0                                                    // 0000000088BC: BF800000
	v_cndmask_b32_e32 v101, v197, v101, vcc                    // 0000000088C0: 00CACBC5
	v_add_u32_e32 v185, 0x62, v184                             // 0000000088C4: 697370FF 00000062
	v_cmp_lt_i32_e32 vcc, v185, v194                           // 0000000088CC: 7D8385B9
	s_nop 0                                                    // 0000000088D0: BF800000
	v_cndmask_b32_e32 v102, v197, v102, vcc                    // 0000000088D4: 00CCCDC5
	v_add_u32_e32 v185, 0x63, v184                             // 0000000088D8: 697370FF 00000063
	v_cmp_lt_i32_e32 vcc, v185, v194                           // 0000000088E0: 7D8385B9
	s_nop 0                                                    // 0000000088E4: BF800000
	v_cndmask_b32_e32 v103, v197, v103, vcc                    // 0000000088E8: 00CECFC5
	v_add_u32_e32 v185, 0x68, v184                             // 0000000088EC: 697370FF 00000068
	v_cmp_lt_i32_e32 vcc, v185, v194                           // 0000000088F4: 7D8385B9
	s_nop 0                                                    // 0000000088F8: BF800000
	v_cndmask_b32_e32 v104, v197, v104, vcc                    // 0000000088FC: 00D0D1C5
	v_add_u32_e32 v185, 0x69, v184                             // 000000008900: 697370FF 00000069
	v_cmp_lt_i32_e32 vcc, v185, v194                           // 000000008908: 7D8385B9
	s_nop 0                                                    // 00000000890C: BF800000
	v_cndmask_b32_e32 v105, v197, v105, vcc                    // 000000008910: 00D2D3C5
	v_add_u32_e32 v185, 0x6a, v184                             // 000000008914: 697370FF 0000006A
	v_cmp_lt_i32_e32 vcc, v185, v194                           // 00000000891C: 7D8385B9
	s_nop 0                                                    // 000000008920: BF800000
	v_cndmask_b32_e32 v106, v197, v106, vcc                    // 000000008924: 00D4D5C5
	v_add_u32_e32 v185, 0x6b, v184                             // 000000008928: 697370FF 0000006B
	v_cmp_lt_i32_e32 vcc, v185, v194                           // 000000008930: 7D8385B9
	s_nop 0                                                    // 000000008934: BF800000
	v_cndmask_b32_e32 v107, v197, v107, vcc                    // 000000008938: 00D6D7C5
	v_add_u32_e32 v185, 0x70, v184                             // 00000000893C: 697370FF 00000070
	v_cmp_lt_i32_e32 vcc, v185, v194                           // 000000008944: 7D8385B9
	s_nop 0                                                    // 000000008948: BF800000
	v_cndmask_b32_e32 v108, v197, v108, vcc                    // 00000000894C: 00D8D9C5
	v_add_u32_e32 v185, 0x71, v184                             // 000000008950: 697370FF 00000071
	v_cmp_lt_i32_e32 vcc, v185, v194                           // 000000008958: 7D8385B9
	s_nop 0                                                    // 00000000895C: BF800000
	v_cndmask_b32_e32 v109, v197, v109, vcc                    // 000000008960: 00DADBC5
	v_add_u32_e32 v185, 0x72, v184                             // 000000008964: 697370FF 00000072
	v_cmp_lt_i32_e32 vcc, v185, v194                           // 00000000896C: 7D8385B9
	s_nop 0                                                    // 000000008970: BF800000
	v_cndmask_b32_e32 v110, v197, v110, vcc                    // 000000008974: 00DCDDC5
	v_add_u32_e32 v185, 0x73, v184                             // 000000008978: 697370FF 00000073
	v_cmp_lt_i32_e32 vcc, v185, v194                           // 000000008980: 7D8385B9
	s_nop 0                                                    // 000000008984: BF800000
	v_cndmask_b32_e32 v111, v197, v111, vcc                    // 000000008988: 00DEDFC5
	v_add_u32_e32 v185, 0x78, v184                             // 00000000898C: 697370FF 00000078
	v_cmp_lt_i32_e32 vcc, v185, v194                           // 000000008994: 7D8385B9
	s_nop 0                                                    // 000000008998: BF800000
	v_cndmask_b32_e32 v112, v197, v112, vcc                    // 00000000899C: 00E0E1C5
	v_add_u32_e32 v185, 0x79, v184                             // 0000000089A0: 697370FF 00000079
	v_cmp_lt_i32_e32 vcc, v185, v194                           // 0000000089A8: 7D8385B9
	s_nop 0                                                    // 0000000089AC: BF800000
	v_cndmask_b32_e32 v113, v197, v113, vcc                    // 0000000089B0: 00E2E3C5
	v_add_u32_e32 v185, 0x7a, v184                             // 0000000089B4: 697370FF 0000007A
	v_cmp_lt_i32_e32 vcc, v185, v194                           // 0000000089BC: 7D8385B9
	s_nop 0                                                    // 0000000089C0: BF800000
	v_cndmask_b32_e32 v114, v197, v114, vcc                    // 0000000089C4: 00E4E5C5
	v_add_u32_e32 v185, 0x7b, v184                             // 0000000089C8: 697370FF 0000007B
	v_cmp_lt_i32_e32 vcc, v185, v194                           // 0000000089D0: 7D8385B9
	s_nop 0                                                    // 0000000089D4: BF800000
	v_cndmask_b32_e32 v115, v197, v115, vcc                    // 0000000089D8: 00E6E7C5
	v_mov_b32_e32 v193, v192                                   // 0000000089DC: 7F8203C0
	v_max3_f32 v193, v52, v53, v193                            // 0000000089E0: D1D300C1 07066B34
	v_max3_f32 v193, v54, v55, v193                            // 0000000089E8: D1D300C1 07066F36
	v_max3_f32 v193, v56, v57, v193                            // 0000000089F0: D1D300C1 07067338
	v_max3_f32 v193, v58, v59, v193                            // 0000000089F8: D1D300C1 0706773A
	v_max3_f32 v193, v60, v61, v193                            // 000000008A00: D1D300C1 07067B3C
	v_max3_f32 v193, v62, v63, v193                            // 000000008A08: D1D300C1 07067F3E
	v_max3_f32 v193, v64, v65, v193                            // 000000008A10: D1D300C1 07068340
	v_max3_f32 v193, v66, v67, v193                            // 000000008A18: D1D300C1 07068742
	v_max3_f32 v193, v68, v69, v193                            // 000000008A20: D1D300C1 07068B44
	v_max3_f32 v193, v70, v71, v193                            // 000000008A28: D1D300C1 07068F46
	v_max3_f32 v193, v72, v73, v193                            // 000000008A30: D1D300C1 07069348
	v_max3_f32 v193, v74, v75, v193                            // 000000008A38: D1D300C1 0706974A
	v_max3_f32 v193, v76, v77, v193                            // 000000008A40: D1D300C1 07069B4C
	v_max3_f32 v193, v78, v79, v193                            // 000000008A48: D1D300C1 07069F4E
	v_max3_f32 v193, v80, v81, v193                            // 000000008A50: D1D300C1 0706A350
	v_max3_f32 v193, v82, v83, v193                            // 000000008A58: D1D300C1 0706A752
	v_max3_f32 v193, v84, v85, v193                            // 000000008A60: D1D300C1 0706AB54
	v_max3_f32 v193, v86, v87, v193                            // 000000008A68: D1D300C1 0706AF56
	v_max3_f32 v193, v88, v89, v193                            // 000000008A70: D1D300C1 0706B358
	v_max3_f32 v193, v90, v91, v193                            // 000000008A78: D1D300C1 0706B75A
	v_max3_f32 v193, v92, v93, v193                            // 000000008A80: D1D300C1 0706BB5C
	v_max3_f32 v193, v94, v95, v193                            // 000000008A88: D1D300C1 0706BF5E
	v_max3_f32 v193, v96, v97, v193                            // 000000008A90: D1D300C1 0706C360
	v_max3_f32 v193, v98, v99, v193                            // 000000008A98: D1D300C1 0706C762
	v_max3_f32 v193, v100, v101, v193                          // 000000008AA0: D1D300C1 0706CB64
	v_max3_f32 v193, v102, v103, v193                          // 000000008AA8: D1D300C1 0706CF66
	v_max3_f32 v193, v104, v105, v193                          // 000000008AB0: D1D300C1 0706D368
	v_max3_f32 v193, v106, v107, v193                          // 000000008AB8: D1D300C1 0706D76A
	v_max3_f32 v193, v108, v109, v193                          // 000000008AC0: D1D300C1 0706DB6C
	v_max3_f32 v193, v110, v111, v193                          // 000000008AC8: D1D300C1 0706DF6E
	v_max3_f32 v193, v112, v113, v193                          // 000000008AD0: D1D300C1 0706E370
	v_max3_f32 v193, v114, v115, v193                          // 000000008AD8: D1D300C1 0706E772
	v_mov_b32_e32 v184, v193                                   // 000000008AE0: 7F7003C1
	s_nop 1                                                    // 000000008AE4: BF800001
	s_nop 0                                                    // 000000008AE8: BF800000
	v_permlane32_swap_b32_e32 v184, v193                       // 000000008AEC: 7F70B5C1
	v_max_f32_e32 v193, v193, v184                             // 000000008AF0: 178371C1
	v_cmp_eq_u32_e64 s[66:67], v197, v193                      // 000000008AF4: D0CA0042 000383C5
	s_nop 0                                                    // 000000008AFC: BF800000
	v_cndmask_b32_e64 v193, v193, 0, s[66:67]                  // 000000008B00: D10000C1 010901C1
	v_mul_f32_e64 v184, -s26, v193                             // 000000008B08: D10500B8 2003821A
	v_mov_b32_e32 v185, v184                                   // 000000008B10: 7F7203B8
	v_pk_fma_f32 v[52:53], v[52:53], s[26:27], v[184:185]      // 000000008B14: D3B04034 1EE03534
	v_pk_fma_f32 v[54:55], v[54:55], s[26:27], v[184:185]      // 000000008B1C: D3B04036 1EE03536
	v_pk_fma_f32 v[56:57], v[56:57], s[26:27], v[184:185]      // 000000008B24: D3B04038 1EE03538
	v_pk_fma_f32 v[58:59], v[58:59], s[26:27], v[184:185]      // 000000008B2C: D3B0403A 1EE0353A
	v_pk_fma_f32 v[60:61], v[60:61], s[26:27], v[184:185]      // 000000008B34: D3B0403C 1EE0353C
	v_pk_fma_f32 v[62:63], v[62:63], s[26:27], v[184:185]      // 000000008B3C: D3B0403E 1EE0353E
	v_pk_fma_f32 v[64:65], v[64:65], s[26:27], v[184:185]      // 000000008B44: D3B04040 1EE03540
	v_pk_fma_f32 v[66:67], v[66:67], s[26:27], v[184:185]      // 000000008B4C: D3B04042 1EE03542
	v_pk_fma_f32 v[68:69], v[68:69], s[26:27], v[184:185]      // 000000008B54: D3B04044 1EE03544
	v_pk_fma_f32 v[70:71], v[70:71], s[26:27], v[184:185]      // 000000008B5C: D3B04046 1EE03546
	v_pk_fma_f32 v[72:73], v[72:73], s[26:27], v[184:185]      // 000000008B64: D3B04048 1EE03548
	v_pk_fma_f32 v[74:75], v[74:75], s[26:27], v[184:185]      // 000000008B6C: D3B0404A 1EE0354A
	v_pk_fma_f32 v[76:77], v[76:77], s[26:27], v[184:185]      // 000000008B74: D3B0404C 1EE0354C
	v_pk_fma_f32 v[78:79], v[78:79], s[26:27], v[184:185]      // 000000008B7C: D3B0404E 1EE0354E
	v_pk_fma_f32 v[80:81], v[80:81], s[26:27], v[184:185]      // 000000008B84: D3B04050 1EE03550
	v_pk_fma_f32 v[82:83], v[82:83], s[26:27], v[184:185]      // 000000008B8C: D3B04052 1EE03552
	v_pk_fma_f32 v[84:85], v[84:85], s[26:27], v[184:185]      // 000000008B94: D3B04054 1EE03554
	v_pk_fma_f32 v[86:87], v[86:87], s[26:27], v[184:185]      // 000000008B9C: D3B04056 1EE03556
	v_pk_fma_f32 v[88:89], v[88:89], s[26:27], v[184:185]      // 000000008BA4: D3B04058 1EE03558
	v_pk_fma_f32 v[90:91], v[90:91], s[26:27], v[184:185]      // 000000008BAC: D3B0405A 1EE0355A
	v_pk_fma_f32 v[92:93], v[92:93], s[26:27], v[184:185]      // 000000008BB4: D3B0405C 1EE0355C
	v_pk_fma_f32 v[94:95], v[94:95], s[26:27], v[184:185]      // 000000008BBC: D3B0405E 1EE0355E
	v_pk_fma_f32 v[96:97], v[96:97], s[26:27], v[184:185]      // 000000008BC4: D3B04060 1EE03560
	v_pk_fma_f32 v[98:99], v[98:99], s[26:27], v[184:185]      // 000000008BCC: D3B04062 1EE03562
	v_pk_fma_f32 v[100:101], v[100:101], s[26:27], v[184:185]  // 000000008BD4: D3B04064 1EE03564
	v_pk_fma_f32 v[102:103], v[102:103], s[26:27], v[184:185]  // 000000008BDC: D3B04066 1EE03566
	v_pk_fma_f32 v[104:105], v[104:105], s[26:27], v[184:185]  // 000000008BE4: D3B04068 1EE03568
	v_pk_fma_f32 v[106:107], v[106:107], s[26:27], v[184:185]  // 000000008BEC: D3B0406A 1EE0356A
	v_pk_fma_f32 v[108:109], v[108:109], s[26:27], v[184:185]  // 000000008BF4: D3B0406C 1EE0356C
	v_pk_fma_f32 v[110:111], v[110:111], s[26:27], v[184:185]  // 000000008BFC: D3B0406E 1EE0356E
	v_pk_fma_f32 v[112:113], v[112:113], s[26:27], v[184:185]  // 000000008C04: D3B04070 1EE03570
	v_pk_fma_f32 v[114:115], v[114:115], s[26:27], v[184:185]  // 000000008C0C: D3B04072 1EE03572
	s_barrier                                                  // 000000008C14: BF8A0000
	v_exp_f32_e32 v52, v52                                     // 000000008C18: 7E684134
	v_exp_f32_e32 v53, v53                                     // 000000008C1C: 7E6A4135
	v_exp_f32_e32 v54, v54                                     // 000000008C20: 7E6C4136
	v_exp_f32_e32 v55, v55                                     // 000000008C24: 7E6E4137
	v_exp_f32_e32 v56, v56                                     // 000000008C28: 7E704138
	v_exp_f32_e32 v57, v57                                     // 000000008C2C: 7E724139
	v_exp_f32_e32 v58, v58                                     // 000000008C30: 7E74413A
	v_exp_f32_e32 v59, v59                                     // 000000008C34: 7E76413B
	v_exp_f32_e32 v60, v60                                     // 000000008C38: 7E78413C
	v_exp_f32_e32 v61, v61                                     // 000000008C3C: 7E7A413D
	v_exp_f32_e32 v62, v62                                     // 000000008C40: 7E7C413E
	v_exp_f32_e32 v63, v63                                     // 000000008C44: 7E7E413F
	v_exp_f32_e32 v64, v64                                     // 000000008C48: 7E804140
	v_exp_f32_e32 v65, v65                                     // 000000008C4C: 7E824141
	v_exp_f32_e32 v66, v66                                     // 000000008C50: 7E844142
	v_exp_f32_e32 v67, v67                                     // 000000008C54: 7E864143
	v_exp_f32_e32 v68, v68                                     // 000000008C58: 7E884144
	v_exp_f32_e32 v69, v69                                     // 000000008C5C: 7E8A4145
	v_exp_f32_e32 v70, v70                                     // 000000008C60: 7E8C4146
	v_exp_f32_e32 v71, v71                                     // 000000008C64: 7E8E4147
	v_exp_f32_e32 v72, v72                                     // 000000008C68: 7E904148
	v_exp_f32_e32 v73, v73                                     // 000000008C6C: 7E924149
	v_exp_f32_e32 v74, v74                                     // 000000008C70: 7E94414A
	v_exp_f32_e32 v75, v75                                     // 000000008C74: 7E96414B
	v_exp_f32_e32 v76, v76                                     // 000000008C78: 7E98414C
	v_exp_f32_e32 v77, v77                                     // 000000008C7C: 7E9A414D
	v_exp_f32_e32 v78, v78                                     // 000000008C80: 7E9C414E
	v_exp_f32_e32 v79, v79                                     // 000000008C84: 7E9E414F
	v_exp_f32_e32 v80, v80                                     // 000000008C88: 7EA04150
	v_exp_f32_e32 v81, v81                                     // 000000008C8C: 7EA24151
	v_exp_f32_e32 v82, v82                                     // 000000008C90: 7EA44152
	v_exp_f32_e32 v83, v83                                     // 000000008C94: 7EA64153
	v_exp_f32_e32 v84, v84                                     // 000000008C98: 7EA84154
	v_exp_f32_e32 v85, v85                                     // 000000008C9C: 7EAA4155
	v_exp_f32_e32 v86, v86                                     // 000000008CA0: 7EAC4156
	v_exp_f32_e32 v87, v87                                     // 000000008CA4: 7EAE4157
	v_exp_f32_e32 v88, v88                                     // 000000008CA8: 7EB04158
	v_exp_f32_e32 v89, v89                                     // 000000008CAC: 7EB24159
	v_exp_f32_e32 v90, v90                                     // 000000008CB0: 7EB4415A
	v_exp_f32_e32 v91, v91                                     // 000000008CB4: 7EB6415B
	v_exp_f32_e32 v92, v92                                     // 000000008CB8: 7EB8415C
	v_exp_f32_e32 v93, v93                                     // 000000008CBC: 7EBA415D
	v_exp_f32_e32 v94, v94                                     // 000000008CC0: 7EBC415E
	v_exp_f32_e32 v95, v95                                     // 000000008CC4: 7EBE415F
	v_exp_f32_e32 v96, v96                                     // 000000008CC8: 7EC04160
	v_exp_f32_e32 v97, v97                                     // 000000008CCC: 7EC24161
	v_exp_f32_e32 v98, v98                                     // 000000008CD0: 7EC44162
	v_exp_f32_e32 v99, v99                                     // 000000008CD4: 7EC64163
	v_exp_f32_e32 v100, v100                                   // 000000008CD8: 7EC84164
	v_exp_f32_e32 v101, v101                                   // 000000008CDC: 7ECA4165
	v_exp_f32_e32 v102, v102                                   // 000000008CE0: 7ECC4166
	v_exp_f32_e32 v103, v103                                   // 000000008CE4: 7ECE4167
	v_exp_f32_e32 v104, v104                                   // 000000008CE8: 7ED04168
	v_exp_f32_e32 v105, v105                                   // 000000008CEC: 7ED24169
	v_exp_f32_e32 v106, v106                                   // 000000008CF0: 7ED4416A
	v_exp_f32_e32 v107, v107                                   // 000000008CF4: 7ED6416B
	v_exp_f32_e32 v108, v108                                   // 000000008CF8: 7ED8416C
	v_exp_f32_e32 v109, v109                                   // 000000008CFC: 7EDA416D
	v_exp_f32_e32 v110, v110                                   // 000000008D00: 7EDC416E
	v_exp_f32_e32 v111, v111                                   // 000000008D04: 7EDE416F
	v_exp_f32_e32 v112, v112                                   // 000000008D08: 7EE04170
	v_exp_f32_e32 v113, v113                                   // 000000008D0C: 7EE24171
	v_exp_f32_e32 v114, v114                                   // 000000008D10: 7EE44172
	v_exp_f32_e32 v115, v115                                   // 000000008D14: 7EE64173
	v_sub_f32_e32 v188, v192, v193                             // 000000008D18: 057983C0
	v_cmp_eq_u32_e64 s[66:67], v197, v192                      // 000000008D1C: D0CA0042 000381C5
	s_nop 0                                                    // 000000008D24: BF800000
	v_cndmask_b32_e64 v188, v188, 0, s[66:67]                  // 000000008D28: D10000BC 010901BC
	v_mov_b32_e32 v192, v193                                   // 000000008D30: 7F8003C1
	v_mul_f32_e32 v188, s26, v188                              // 000000008D34: 0B79781A
	v_exp_f32_e32 v188, v188                                   // 000000008D38: 7F7841BC
	s_nop 0                                                    // 000000008D3C: BF800000
	v_mul_f32_e32 v190, v188, v190                             // 000000008D40: 0B7D7DBC
	v_add_f32_e32 v190, v52, v190                              // 000000008D44: 037D7D34
	v_add_f32_e32 v190, v53, v190                              // 000000008D48: 037D7D35
	v_add_f32_e32 v190, v54, v190                              // 000000008D4C: 037D7D36
	v_add_f32_e32 v190, v55, v190                              // 000000008D50: 037D7D37
	v_add_f32_e32 v190, v56, v190                              // 000000008D54: 037D7D38
	v_add_f32_e32 v190, v57, v190                              // 000000008D58: 037D7D39
	v_add_f32_e32 v190, v58, v190                              // 000000008D5C: 037D7D3A
	v_add_f32_e32 v190, v59, v190                              // 000000008D60: 037D7D3B
	v_add_f32_e32 v190, v60, v190                              // 000000008D64: 037D7D3C
	v_add_f32_e32 v190, v61, v190                              // 000000008D68: 037D7D3D
	v_add_f32_e32 v190, v62, v190                              // 000000008D6C: 037D7D3E
	v_add_f32_e32 v190, v63, v190                              // 000000008D70: 037D7D3F
	v_add_f32_e32 v190, v64, v190                              // 000000008D74: 037D7D40
	v_add_f32_e32 v190, v65, v190                              // 000000008D78: 037D7D41
	v_add_f32_e32 v190, v66, v190                              // 000000008D7C: 037D7D42
	v_add_f32_e32 v190, v67, v190                              // 000000008D80: 037D7D43
	v_add_f32_e32 v190, v68, v190                              // 000000008D84: 037D7D44
	v_add_f32_e32 v190, v69, v190                              // 000000008D88: 037D7D45
	v_add_f32_e32 v190, v70, v190                              // 000000008D8C: 037D7D46
	v_add_f32_e32 v190, v71, v190                              // 000000008D90: 037D7D47
	v_add_f32_e32 v190, v72, v190                              // 000000008D94: 037D7D48
	v_add_f32_e32 v190, v73, v190                              // 000000008D98: 037D7D49
	v_add_f32_e32 v190, v74, v190                              // 000000008D9C: 037D7D4A
	v_add_f32_e32 v190, v75, v190                              // 000000008DA0: 037D7D4B
	v_add_f32_e32 v190, v76, v190                              // 000000008DA4: 037D7D4C
	v_add_f32_e32 v190, v77, v190                              // 000000008DA8: 037D7D4D
	v_add_f32_e32 v190, v78, v190                              // 000000008DAC: 037D7D4E
	v_add_f32_e32 v190, v79, v190                              // 000000008DB0: 037D7D4F
	v_add_f32_e32 v190, v80, v190                              // 000000008DB4: 037D7D50
	v_add_f32_e32 v190, v81, v190                              // 000000008DB8: 037D7D51
	v_add_f32_e32 v190, v82, v190                              // 000000008DBC: 037D7D52
	v_add_f32_e32 v190, v83, v190                              // 000000008DC0: 037D7D53
	v_add_f32_e32 v190, v84, v190                              // 000000008DC4: 037D7D54
	v_add_f32_e32 v190, v85, v190                              // 000000008DC8: 037D7D55
	v_add_f32_e32 v190, v86, v190                              // 000000008DCC: 037D7D56
	v_add_f32_e32 v190, v87, v190                              // 000000008DD0: 037D7D57
	v_add_f32_e32 v190, v88, v190                              // 000000008DD4: 037D7D58
	v_add_f32_e32 v190, v89, v190                              // 000000008DD8: 037D7D59
	v_add_f32_e32 v190, v90, v190                              // 000000008DDC: 037D7D5A
	v_add_f32_e32 v190, v91, v190                              // 000000008DE0: 037D7D5B
	v_add_f32_e32 v190, v92, v190                              // 000000008DE4: 037D7D5C
	v_add_f32_e32 v190, v93, v190                              // 000000008DE8: 037D7D5D
	v_add_f32_e32 v190, v94, v190                              // 000000008DEC: 037D7D5E
	v_add_f32_e32 v190, v95, v190                              // 000000008DF0: 037D7D5F
	v_add_f32_e32 v190, v96, v190                              // 000000008DF4: 037D7D60
	v_add_f32_e32 v190, v97, v190                              // 000000008DF8: 037D7D61
	v_add_f32_e32 v190, v98, v190                              // 000000008DFC: 037D7D62
	v_add_f32_e32 v190, v99, v190                              // 000000008E00: 037D7D63
	v_add_f32_e32 v190, v100, v190                             // 000000008E04: 037D7D64
	v_add_f32_e32 v190, v101, v190                             // 000000008E08: 037D7D65
	v_add_f32_e32 v190, v102, v190                             // 000000008E0C: 037D7D66
	v_add_f32_e32 v190, v103, v190                             // 000000008E10: 037D7D67
	v_add_f32_e32 v190, v104, v190                             // 000000008E14: 037D7D68
	v_add_f32_e32 v190, v105, v190                             // 000000008E18: 037D7D69
	v_add_f32_e32 v190, v106, v190                             // 000000008E1C: 037D7D6A
	v_add_f32_e32 v190, v107, v190                             // 000000008E20: 037D7D6B
	v_add_f32_e32 v190, v108, v190                             // 000000008E24: 037D7D6C
	v_add_f32_e32 v190, v109, v190                             // 000000008E28: 037D7D6D
	v_add_f32_e32 v190, v110, v190                             // 000000008E2C: 037D7D6E
	v_add_f32_e32 v190, v111, v190                             // 000000008E30: 037D7D6F
	v_add_f32_e32 v190, v112, v190                             // 000000008E34: 037D7D70
	v_add_f32_e32 v190, v113, v190                             // 000000008E38: 037D7D71
	v_add_f32_e32 v190, v114, v190                             // 000000008E3C: 037D7D72
	v_add_f32_e32 v190, v115, v190                             // 000000008E40: 037D7D73
	v_mul_f32_e32 v116, v188, v116                             // 000000008E44: 0AE8E9BC
	v_mul_f32_e32 v117, v188, v117                             // 000000008E48: 0AEAEBBC
	v_mul_f32_e32 v118, v188, v118                             // 000000008E4C: 0AECEDBC
	v_mul_f32_e32 v119, v188, v119                             // 000000008E50: 0AEEEFBC
	v_mul_f32_e32 v120, v188, v120                             // 000000008E54: 0AF0F1BC
	v_mul_f32_e32 v121, v188, v121                             // 000000008E58: 0AF2F3BC
	v_mul_f32_e32 v122, v188, v122                             // 000000008E5C: 0AF4F5BC
	v_mul_f32_e32 v123, v188, v123                             // 000000008E60: 0AF6F7BC
	v_mul_f32_e32 v124, v188, v124                             // 000000008E64: 0AF8F9BC
	v_mul_f32_e32 v125, v188, v125                             // 000000008E68: 0AFAFBBC
	v_mul_f32_e32 v126, v188, v126                             // 000000008E6C: 0AFCFDBC
	v_mul_f32_e32 v127, v188, v127                             // 000000008E70: 0AFEFFBC
	v_mul_f32_e32 v128, v188, v128                             // 000000008E74: 0B0101BC
	v_mul_f32_e32 v129, v188, v129                             // 000000008E78: 0B0303BC
	v_mul_f32_e32 v130, v188, v130                             // 000000008E7C: 0B0505BC
	v_mul_f32_e32 v131, v188, v131                             // 000000008E80: 0B0707BC
	v_mul_f32_e32 v132, v188, v132                             // 000000008E84: 0B0909BC
	v_mul_f32_e32 v133, v188, v133                             // 000000008E88: 0B0B0BBC
	v_mul_f32_e32 v134, v188, v134                             // 000000008E8C: 0B0D0DBC
	v_mul_f32_e32 v135, v188, v135                             // 000000008E90: 0B0F0FBC
	v_mul_f32_e32 v136, v188, v136                             // 000000008E94: 0B1111BC
	v_mul_f32_e32 v137, v188, v137                             // 000000008E98: 0B1313BC
	v_mul_f32_e32 v138, v188, v138                             // 000000008E9C: 0B1515BC
	v_mul_f32_e32 v139, v188, v139                             // 000000008EA0: 0B1717BC
	v_mul_f32_e32 v140, v188, v140                             // 000000008EA4: 0B1919BC
	s_waitcnt vmcnt(0)                                         // 000000008EA8: BF8C0F70
	s_barrier                                                  // 000000008EAC: BF8A0000
	v_mul_f32_e32 v141, v188, v141                             // 000000008EB0: 0B1B1BBC
	v_mul_f32_e32 v142, v188, v142                             // 000000008EB4: 0B1D1DBC
	v_mul_f32_e32 v143, v188, v143                             // 000000008EB8: 0B1F1FBC
	v_mul_f32_e32 v144, v188, v144                             // 000000008EBC: 0B2121BC
	v_mul_f32_e32 v145, v188, v145                             // 000000008EC0: 0B2323BC
	v_mul_f32_e32 v146, v188, v146                             // 000000008EC4: 0B2525BC
	v_mul_f32_e32 v147, v188, v147                             // 000000008EC8: 0B2727BC
	v_mul_f32_e32 v148, v188, v148                             // 000000008ECC: 0B2929BC
	v_mul_f32_e32 v149, v188, v149                             // 000000008ED0: 0B2B2BBC
	v_mul_f32_e32 v150, v188, v150                             // 000000008ED4: 0B2D2DBC
	v_mul_f32_e32 v151, v188, v151                             // 000000008ED8: 0B2F2FBC
	v_mul_f32_e32 v152, v188, v152                             // 000000008EDC: 0B3131BC
	v_mul_f32_e32 v153, v188, v153                             // 000000008EE0: 0B3333BC
	v_mul_f32_e32 v154, v188, v154                             // 000000008EE4: 0B3535BC
	v_mul_f32_e32 v155, v188, v155                             // 000000008EE8: 0B3737BC
	v_mul_f32_e32 v156, v188, v156                             // 000000008EEC: 0B3939BC
	v_mul_f32_e32 v157, v188, v157                             // 000000008EF0: 0B3B3BBC
	v_mul_f32_e32 v158, v188, v158                             // 000000008EF4: 0B3D3DBC
	v_mul_f32_e32 v159, v188, v159                             // 000000008EF8: 0B3F3FBC
	v_mul_f32_e32 v160, v188, v160                             // 000000008EFC: 0B4141BC
	v_mul_f32_e32 v161, v188, v161                             // 000000008F00: 0B4343BC
	v_mul_f32_e32 v162, v188, v162                             // 000000008F04: 0B4545BC
	v_mul_f32_e32 v163, v188, v163                             // 000000008F08: 0B4747BC
	v_mul_f32_e32 v164, v188, v164                             // 000000008F0C: 0B4949BC
	v_mul_f32_e32 v165, v188, v165                             // 000000008F10: 0B4B4BBC
	v_mul_f32_e32 v166, v188, v166                             // 000000008F14: 0B4D4DBC
	v_mul_f32_e32 v167, v188, v167                             // 000000008F18: 0B4F4FBC
	v_mul_f32_e32 v168, v188, v168                             // 000000008F1C: 0B5151BC
	v_mul_f32_e32 v169, v188, v169                             // 000000008F20: 0B5353BC
	v_mul_f32_e32 v170, v188, v170                             // 000000008F24: 0B5555BC
	v_mul_f32_e32 v171, v188, v171                             // 000000008F28: 0B5757BC
	v_mul_f32_e32 v172, v188, v172                             // 000000008F2C: 0B5959BC
	v_mul_f32_e32 v173, v188, v173                             // 000000008F30: 0B5B5BBC
	v_mul_f32_e32 v174, v188, v174                             // 000000008F34: 0B5D5DBC
	v_mul_f32_e32 v175, v188, v175                             // 000000008F38: 0B5F5FBC
	v_mul_f32_e32 v176, v188, v176                             // 000000008F3C: 0B6161BC
	v_mul_f32_e32 v177, v188, v177                             // 000000008F40: 0B6363BC
	v_mul_f32_e32 v178, v188, v178                             // 000000008F44: 0B6565BC
	v_mul_f32_e32 v179, v188, v179                             // 000000008F48: 0B6767BC
	s_barrier                                                  // 000000008F4C: BF8A0000
	v_cvt_pk_fp8_f32 v52, v52, v53                             // 000000008F50: D2A20034 00026B34
	v_cvt_pk_fp8_f32 v52, v54, v55 op_sel:[0,0,1]              // 000000008F58: D2A24034 00026F36
	v_cvt_pk_fp8_f32 v53, v56, v57                             // 000000008F60: D2A20035 00027338
	v_cvt_pk_fp8_f32 v53, v58, v59 op_sel:[0,0,1]              // 000000008F68: D2A24035 0002773A
	v_cvt_pk_fp8_f32 v54, v60, v61                             // 000000008F70: D2A20036 00027B3C
	v_cvt_pk_fp8_f32 v54, v62, v63 op_sel:[0,0,1]              // 000000008F78: D2A24036 00027F3E
	v_cvt_pk_fp8_f32 v55, v64, v65                             // 000000008F80: D2A20037 00028340
	v_cvt_pk_fp8_f32 v55, v66, v67 op_sel:[0,0,1]              // 000000008F88: D2A24037 00028742
	v_cvt_pk_fp8_f32 v56, v68, v69                             // 000000008F90: D2A20038 00028B44
	v_cvt_pk_fp8_f32 v56, v70, v71 op_sel:[0,0,1]              // 000000008F98: D2A24038 00028F46
	v_cvt_pk_fp8_f32 v57, v72, v73                             // 000000008FA0: D2A20039 00029348
	v_cvt_pk_fp8_f32 v57, v74, v75 op_sel:[0,0,1]              // 000000008FA8: D2A24039 0002974A
	v_cvt_pk_fp8_f32 v58, v76, v77                             // 000000008FB0: D2A2003A 00029B4C
	v_cvt_pk_fp8_f32 v58, v78, v79 op_sel:[0,0,1]              // 000000008FB8: D2A2403A 00029F4E
	v_cvt_pk_fp8_f32 v59, v80, v81                             // 000000008FC0: D2A2003B 0002A350
	v_cvt_pk_fp8_f32 v59, v82, v83 op_sel:[0,0,1]              // 000000008FC8: D2A2403B 0002A752
	v_cvt_pk_fp8_f32 v60, v84, v85                             // 000000008FD0: D2A2003C 0002AB54
	v_cvt_pk_fp8_f32 v60, v86, v87 op_sel:[0,0,1]              // 000000008FD8: D2A2403C 0002AF56
	v_cvt_pk_fp8_f32 v61, v88, v89                             // 000000008FE0: D2A2003D 0002B358
	v_cvt_pk_fp8_f32 v61, v90, v91 op_sel:[0,0,1]              // 000000008FE8: D2A2403D 0002B75A
	v_cvt_pk_fp8_f32 v62, v92, v93                             // 000000008FF0: D2A2003E 0002BB5C
	v_cvt_pk_fp8_f32 v62, v94, v95 op_sel:[0,0,1]              // 000000008FF8: D2A2403E 0002BF5E
	v_cvt_pk_fp8_f32 v63, v96, v97                             // 000000009000: D2A2003F 0002C360
	v_cvt_pk_fp8_f32 v63, v98, v99 op_sel:[0,0,1]              // 000000009008: D2A2403F 0002C762
	v_cvt_pk_fp8_f32 v64, v100, v101                           // 000000009010: D2A20040 0002CB64
	v_cvt_pk_fp8_f32 v64, v102, v103 op_sel:[0,0,1]            // 000000009018: D2A24040 0002CF66
	v_cvt_pk_fp8_f32 v65, v104, v105                           // 000000009020: D2A20041 0002D368
	v_cvt_pk_fp8_f32 v65, v106, v107 op_sel:[0,0,1]            // 000000009028: D2A24041 0002D76A
	v_cvt_pk_fp8_f32 v66, v108, v109                           // 000000009030: D2A20042 0002DB6C
	v_cvt_pk_fp8_f32 v66, v110, v111 op_sel:[0,0,1]            // 000000009038: D2A24042 0002DF6E
	v_cvt_pk_fp8_f32 v67, v112, v113                           // 000000009040: D2A20043 0002E370
	v_cvt_pk_fp8_f32 v67, v114, v115 op_sel:[0,0,1]            // 000000009048: D2A24043 0002E772
	s_barrier                                                  // 000000009050: BF8A0000
	s_waitcnt lgkmcnt(8)                                       // 000000009054: BF8CC87F
	s_setprio 1                                                // 000000009058: BF8F0001
	s_barrier                                                  // 00000000905C: BF8A0000
	v_mfma_f32_32x32x64_f8f6f4 v[116:131], v[20:27], v[52:59], v[116:131]// 000000009060: D3AE0074 05D26914
	ds_read_b64_tr_b8 v[36:37], v219 offset:32                 // 000000009068: D9C40020 240000DB
	ds_read_b64_tr_b8 v[38:39], v219 offset:288                // 000000009070: D9C40120 260000DB
	ds_read_b64_tr_b8 v[40:41], v219 offset:544                // 000000009078: D9C40220 280000DB
	ds_read_b64_tr_b8 v[42:43], v219 offset:800                // 000000009080: D9C40320 2A0000DB
	s_waitcnt lgkmcnt(8)                                       // 000000009088: BF8CC87F
	v_mfma_f32_32x32x64_f8f6f4 v[116:131], v[28:35], v[60:67], v[116:131]// 00000000908C: D3AE0074 05D2791C
	ds_read_b64_tr_b8 v[44:45], v219 offset:8352               // 000000009094: D9C420A0 2C0000DB
	ds_read_b64_tr_b8 v[46:47], v219 offset:8608               // 00000000909C: D9C421A0 2E0000DB
	ds_read_b64_tr_b8 v[48:49], v219 offset:8864               // 0000000090A4: D9C422A0 300000DB
	ds_read_b64_tr_b8 v[50:51], v219 offset:9120               // 0000000090AC: D9C423A0 320000DB
	s_waitcnt lgkmcnt(8)                                       // 0000000090B4: BF8CC87F
	v_mfma_f32_32x32x64_f8f6f4 v[132:147], v[36:43], v[52:59], v[132:147]// 0000000090B8: D3AE0084 06126924
	ds_read_b64_tr_b8 v[20:21], v219 offset:64                 // 0000000090C0: D9C40040 140000DB
	ds_read_b64_tr_b8 v[22:23], v219 offset:320                // 0000000090C8: D9C40140 160000DB
	ds_read_b64_tr_b8 v[24:25], v219 offset:576                // 0000000090D0: D9C40240 180000DB
	ds_read_b64_tr_b8 v[26:27], v219 offset:832                // 0000000090D8: D9C40340 1A0000DB
	s_waitcnt lgkmcnt(8)                                       // 0000000090E0: BF8CC87F
	v_mfma_f32_32x32x64_f8f6f4 v[132:147], v[44:51], v[60:67], v[132:147]// 0000000090E4: D3AE0084 0612792C
	ds_read_b64_tr_b8 v[28:29], v219 offset:8384               // 0000000090EC: D9C420C0 1C0000DB
	ds_read_b64_tr_b8 v[30:31], v219 offset:8640               // 0000000090F4: D9C421C0 1E0000DB
	ds_read_b64_tr_b8 v[32:33], v219 offset:8896               // 0000000090FC: D9C422C0 200000DB
	ds_read_b64_tr_b8 v[34:35], v219 offset:9152               // 000000009104: D9C423C0 220000DB
	s_waitcnt lgkmcnt(8)                                       // 00000000910C: BF8CC87F
	v_mfma_f32_32x32x64_f8f6f4 v[148:163], v[20:27], v[52:59], v[148:163]// 000000009110: D3AE0094 06526914
	ds_read_b64_tr_b8 v[36:37], v219 offset:96                 // 000000009118: D9C40060 240000DB
	ds_read_b64_tr_b8 v[38:39], v219 offset:352                // 000000009120: D9C40160 260000DB
	ds_read_b64_tr_b8 v[40:41], v219 offset:608                // 000000009128: D9C40260 280000DB
	ds_read_b64_tr_b8 v[42:43], v219 offset:864                // 000000009130: D9C40360 2A0000DB
	s_waitcnt lgkmcnt(8)                                       // 000000009138: BF8CC87F
	v_mfma_f32_32x32x64_f8f6f4 v[148:163], v[28:35], v[60:67], v[148:163]// 00000000913C: D3AE0094 0652791C
	ds_read_b64_tr_b8 v[44:45], v219 offset:8416               // 000000009144: D9C420E0 2C0000DB
	ds_read_b64_tr_b8 v[46:47], v219 offset:8672               // 00000000914C: D9C421E0 2E0000DB
	ds_read_b64_tr_b8 v[48:49], v219 offset:8928               // 000000009154: D9C422E0 300000DB
	ds_read_b64_tr_b8 v[50:51], v219 offset:9184               // 00000000915C: D9C423E0 320000DB
	s_waitcnt lgkmcnt(8)                                       // 000000009164: BF8CC87F
	v_mfma_f32_32x32x64_f8f6f4 v[164:179], v[36:43], v[52:59], v[164:179]// 000000009168: D3AE00A4 06926924
	ds_read_b128 v[20:23], v218 offset:16640                   // 000000009170: D9FE4100 140000DA
	ds_read_b128 v[24:27], v218 offset:16672                   // 000000009178: D9FE4120 180000DA
	s_waitcnt lgkmcnt(6)                                       // 000000009180: BF8CC67F
	v_mfma_f32_32x32x64_f8f6f4 v[164:179], v[44:51], v[60:67], v[164:179]// 000000009184: D3AE00A4 0692792C
	ds_read_b128 v[28:31], v218 offset:20800                   // 00000000918C: D9FE5140 1C0000DA
	ds_read_b128 v[32:35], v218 offset:20832                   // 000000009194: D9FE5160 200000DA
	s_addk_i32 s68, 0x80                                       // 00000000919C: B7440080

00000000000091a0 <label_56A0>:
	s_cmp_lt_i32 s68, s43                                      // 0000000091A0: BF042B44
	s_cbranch_scc0 label_6480                                  // 0000000091A4: BF840376
	s_waitcnt lgkmcnt(2)                                       // 0000000091A8: BF8CC27F
	v_mfma_f32_32x32x64_f8f6f4 v[52:67], v[20:27], v[4:11], 0  // 0000000091AC: D3AE0034 02020914
	v_mul_i32_i24_dpp v184, v181, v223 quad_perm:[0,0,0,0] row_mask:0xf bank_mask:0xf// 0000000091B4: 0D71BEFA FF0000B5
	v_mul_i32_i24_dpp v185, v181, v223 quad_perm:[1,1,1,1] row_mask:0xf bank_mask:0xf// 0000000091BC: 0D73BEFA FF0055B5
	v_mul_i32_i24_dpp v186, v181, v223 quad_perm:[2,2,2,2] row_mask:0xf bank_mask:0xf// 0000000091C4: 0D75BEFA FF00AAB5
	v_mul_i32_i24_dpp v187, v181, v223 quad_perm:[3,3,3,3] row_mask:0xf bank_mask:0xf// 0000000091CC: 0D77BEFA FF00FFB5
	v_add_u32_e32 v214, v213, v184                             // 0000000091D4: 69AD71D5
	v_add_u32_e32 v215, v213, v185                             // 0000000091D8: 69AF73D5
	v_add_u32_e32 v216, v213, v186                             // 0000000091DC: 69B175D5
	v_add_u32_e32 v217, v213, v187                             // 0000000091E0: 69B377D5
	ds_read_b128 v[36:39], v218 offset:17152                   // 0000000091E4: D9FE4300 240000DA
	ds_read_b128 v[40:43], v218 offset:17184                   // 0000000091EC: D9FE4320 280000DA
	s_waitcnt lgkmcnt(2)                                       // 0000000091F4: BF8CC27F
	v_mfma_f32_32x32x64_f8f6f4 v[52:67], v[28:35], v[12:19], v[52:67]// 0000000091F8: D3AE0034 04D2191C
	s_add_u32 m0, s72, 0                                       // 000000009200: 807C8048
	buffer_load_dwordx4 v214, s[16:19], 0 offen lds            // 000000009204: E05D1000 800400D6
	ds_read_b128 v[44:47], v218 offset:21312                   // 00000000920C: D9FE5340 2C0000DA
	ds_read_b128 v[48:51], v218 offset:21344                   // 000000009214: D9FE5360 300000DA
	s_waitcnt lgkmcnt(2)                                       // 00000000921C: BF8CC27F
	v_mfma_f32_32x32x64_f8f6f4 v[68:83], v[36:43], v[4:11], 0  // 000000009220: D3AE0044 02020924
	s_add_u32 m0, s72, 0x410                                   // 000000009228: 807CFF48 00000410
	buffer_load_dwordx4 v215, s[16:19], 0 offen lds            // 000000009230: E05D1000 800400D7
	ds_read_b128 v[20:23], v218 offset:24960                   // 000000009238: D9FE6180 140000DA
	ds_read_b128 v[24:27], v218 offset:24992                   // 000000009240: D9FE61A0 180000DA
	s_waitcnt lgkmcnt(2)                                       // 000000009248: BF8CC27F
	v_mfma_f32_32x32x64_f8f6f4 v[68:83], v[44:51], v[12:19], v[68:83]// 00000000924C: D3AE0044 0512192C
	s_add_u32 m0, s72, 0x820                                   // 000000009254: 807CFF48 00000820
	buffer_load_dwordx4 v216, s[16:19], 0 offen lds            // 00000000925C: E05D1000 800400D8
	ds_read_b128 v[28:31], v218 offset:29120                   // 000000009264: D9FE71C0 1C0000DA
	ds_read_b128 v[32:35], v218 offset:29152                   // 00000000926C: D9FE71E0 200000DA
	s_waitcnt lgkmcnt(2)                                       // 000000009274: BF8CC27F
	v_mfma_f32_32x32x64_f8f6f4 v[84:99], v[20:27], v[4:11], 0  // 000000009278: D3AE0054 02020914
	s_add_u32 m0, s72, 0xc30                                   // 000000009280: 807CFF48 00000C30
	buffer_load_dwordx4 v217, s[16:19], 0 offen lds            // 000000009288: E05D1000 800400D9
	ds_read_b128 v[36:39], v218 offset:25472                   // 000000009290: D9FE6380 240000DA
	ds_read_b128 v[40:43], v218 offset:25504                   // 000000009298: D9FE63A0 280000DA
	s_waitcnt lgkmcnt(2)                                       // 0000000092A0: BF8CC27F
	v_mfma_f32_32x32x64_f8f6f4 v[84:99], v[28:35], v[12:19], v[84:99]// 0000000092A4: D3AE0054 0552191C
	ds_read_b128 v[44:47], v218 offset:29632                   // 0000000092AC: D9FE73C0 2C0000DA
	ds_read_b128 v[48:51], v218 offset:29664                   // 0000000092B4: D9FE73E0 300000DA
	s_waitcnt lgkmcnt(2)                                       // 0000000092BC: BF8CC27F
	v_mfma_f32_32x32x64_f8f6f4 v[100:115], v[36:43], v[4:11], 0// 0000000092C0: D3AE0064 02020924
	ds_read_b64_tr_b8 v[20:21], v219 offset:16640              // 0000000092C8: D9C44100 140000DB
	ds_read_b64_tr_b8 v[22:23], v219 offset:16896              // 0000000092D0: D9C44200 160000DB
	ds_read_b64_tr_b8 v[24:25], v219 offset:17152              // 0000000092D8: D9C44300 180000DB
	ds_read_b64_tr_b8 v[26:27], v219 offset:17408              // 0000000092E0: D9C44400 1A0000DB
	s_waitcnt lgkmcnt(4)                                       // 0000000092E8: BF8CC47F
	v_mfma_f32_32x32x64_f8f6f4 v[100:115], v[44:51], v[12:19], v[100:115]// 0000000092EC: D3AE0064 0592192C
	ds_read_b64_tr_b8 v[28:29], v219 offset:24960              // 0000000092F4: D9C46180 1C0000DB
	ds_read_b64_tr_b8 v[30:31], v219 offset:25216              // 0000000092FC: D9C46280 1E0000DB
	ds_read_b64_tr_b8 v[32:33], v219 offset:25472              // 000000009304: D9C46380 200000DB
	ds_read_b64_tr_b8 v[34:35], v219 offset:25728              // 00000000930C: D9C46480 220000DB
	s_nop 0                                                    // 000000009314: BF800000
	s_nop 4                                                    // 000000009318: BF800004
	s_barrier                                                  // 00000000931C: BF8A0000
	s_setprio 0                                                // 000000009320: BF8F0000
	s_barrier                                                  // 000000009324: BF8A0000
	v_add_u32_e32 v184, s68, v195                              // 000000009328: 69718644
	v_add_u32_e32 v185, 0, v184                                // 00000000932C: 69737080
	v_cmp_lt_i32_e32 vcc, v185, v194                           // 000000009330: 7D8385B9
	s_nop 0                                                    // 000000009334: BF800000
	v_cndmask_b32_e32 v52, v197, v52, vcc                      // 000000009338: 006869C5
	v_add_u32_e32 v185, 1, v184                                // 00000000933C: 69737081
	v_cmp_lt_i32_e32 vcc, v185, v194                           // 000000009340: 7D8385B9
	s_nop 0                                                    // 000000009344: BF800000
	v_cndmask_b32_e32 v53, v197, v53, vcc                      // 000000009348: 006A6BC5
	v_add_u32_e32 v185, 2, v184                                // 00000000934C: 69737082
	v_cmp_lt_i32_e32 vcc, v185, v194                           // 000000009350: 7D8385B9
	s_nop 0                                                    // 000000009354: BF800000
	v_cndmask_b32_e32 v54, v197, v54, vcc                      // 000000009358: 006C6DC5
	v_add_u32_e32 v185, 3, v184                                // 00000000935C: 69737083
	v_cmp_lt_i32_e32 vcc, v185, v194                           // 000000009360: 7D8385B9
	s_nop 0                                                    // 000000009364: BF800000
	v_cndmask_b32_e32 v55, v197, v55, vcc                      // 000000009368: 006E6FC5
	v_add_u32_e32 v185, 8, v184                                // 00000000936C: 69737088
	v_cmp_lt_i32_e32 vcc, v185, v194                           // 000000009370: 7D8385B9
	s_nop 0                                                    // 000000009374: BF800000
	v_cndmask_b32_e32 v56, v197, v56, vcc                      // 000000009378: 007071C5
	v_add_u32_e32 v185, 9, v184                                // 00000000937C: 69737089
	v_cmp_lt_i32_e32 vcc, v185, v194                           // 000000009380: 7D8385B9
	s_nop 0                                                    // 000000009384: BF800000
	v_cndmask_b32_e32 v57, v197, v57, vcc                      // 000000009388: 007273C5
	v_add_u32_e32 v185, 10, v184                               // 00000000938C: 6973708A
	v_cmp_lt_i32_e32 vcc, v185, v194                           // 000000009390: 7D8385B9
	s_nop 0                                                    // 000000009394: BF800000
	v_cndmask_b32_e32 v58, v197, v58, vcc                      // 000000009398: 007475C5
	v_add_u32_e32 v185, 11, v184                               // 00000000939C: 6973708B
	v_cmp_lt_i32_e32 vcc, v185, v194                           // 0000000093A0: 7D8385B9
	s_nop 0                                                    // 0000000093A4: BF800000
	v_cndmask_b32_e32 v59, v197, v59, vcc                      // 0000000093A8: 007677C5
	v_add_u32_e32 v185, 16, v184                               // 0000000093AC: 69737090
	v_cmp_lt_i32_e32 vcc, v185, v194                           // 0000000093B0: 7D8385B9
	s_nop 0                                                    // 0000000093B4: BF800000
	v_cndmask_b32_e32 v60, v197, v60, vcc                      // 0000000093B8: 007879C5
	v_add_u32_e32 v185, 17, v184                               // 0000000093BC: 69737091
	v_cmp_lt_i32_e32 vcc, v185, v194                           // 0000000093C0: 7D8385B9
	s_nop 0                                                    // 0000000093C4: BF800000
	v_cndmask_b32_e32 v61, v197, v61, vcc                      // 0000000093C8: 007A7BC5
	v_add_u32_e32 v185, 18, v184                               // 0000000093CC: 69737092
	v_cmp_lt_i32_e32 vcc, v185, v194                           // 0000000093D0: 7D8385B9
	s_nop 0                                                    // 0000000093D4: BF800000
	v_cndmask_b32_e32 v62, v197, v62, vcc                      // 0000000093D8: 007C7DC5
	v_add_u32_e32 v185, 19, v184                               // 0000000093DC: 69737093
	v_cmp_lt_i32_e32 vcc, v185, v194                           // 0000000093E0: 7D8385B9
	s_nop 0                                                    // 0000000093E4: BF800000
	v_cndmask_b32_e32 v63, v197, v63, vcc                      // 0000000093E8: 007E7FC5
	v_add_u32_e32 v185, 24, v184                               // 0000000093EC: 69737098
	v_cmp_lt_i32_e32 vcc, v185, v194                           // 0000000093F0: 7D8385B9
	s_nop 0                                                    // 0000000093F4: BF800000
	v_cndmask_b32_e32 v64, v197, v64, vcc                      // 0000000093F8: 008081C5
	v_add_u32_e32 v185, 25, v184                               // 0000000093FC: 69737099
	v_cmp_lt_i32_e32 vcc, v185, v194                           // 000000009400: 7D8385B9
	s_nop 0                                                    // 000000009404: BF800000
	v_cndmask_b32_e32 v65, v197, v65, vcc                      // 000000009408: 008283C5
	v_add_u32_e32 v185, 26, v184                               // 00000000940C: 6973709A
	v_cmp_lt_i32_e32 vcc, v185, v194                           // 000000009410: 7D8385B9
	s_nop 0                                                    // 000000009414: BF800000
	v_cndmask_b32_e32 v66, v197, v66, vcc                      // 000000009418: 008485C5
	v_add_u32_e32 v185, 27, v184                               // 00000000941C: 6973709B
	v_cmp_lt_i32_e32 vcc, v185, v194                           // 000000009420: 7D8385B9
	s_nop 0                                                    // 000000009424: BF800000
	v_cndmask_b32_e32 v67, v197, v67, vcc                      // 000000009428: 008687C5
	v_add_u32_e32 v185, 32, v184                               // 00000000942C: 697370A0
	v_cmp_lt_i32_e32 vcc, v185, v194                           // 000000009430: 7D8385B9
	s_nop 0                                                    // 000000009434: BF800000
	v_cndmask_b32_e32 v68, v197, v68, vcc                      // 000000009438: 008889C5
	v_add_u32_e32 v185, 33, v184                               // 00000000943C: 697370A1
	v_cmp_lt_i32_e32 vcc, v185, v194                           // 000000009440: 7D8385B9
	s_nop 0                                                    // 000000009444: BF800000
	v_cndmask_b32_e32 v69, v197, v69, vcc                      // 000000009448: 008A8BC5
	v_add_u32_e32 v185, 34, v184                               // 00000000944C: 697370A2
	v_cmp_lt_i32_e32 vcc, v185, v194                           // 000000009450: 7D8385B9
	s_nop 0                                                    // 000000009454: BF800000
	v_cndmask_b32_e32 v70, v197, v70, vcc                      // 000000009458: 008C8DC5
	v_add_u32_e32 v185, 35, v184                               // 00000000945C: 697370A3
	v_cmp_lt_i32_e32 vcc, v185, v194                           // 000000009460: 7D8385B9
	s_nop 0                                                    // 000000009464: BF800000
	v_cndmask_b32_e32 v71, v197, v71, vcc                      // 000000009468: 008E8FC5
	v_add_u32_e32 v185, 40, v184                               // 00000000946C: 697370A8
	v_cmp_lt_i32_e32 vcc, v185, v194                           // 000000009470: 7D8385B9
	s_nop 0                                                    // 000000009474: BF800000
	v_cndmask_b32_e32 v72, v197, v72, vcc                      // 000000009478: 009091C5
	v_add_u32_e32 v185, 41, v184                               // 00000000947C: 697370A9
	v_cmp_lt_i32_e32 vcc, v185, v194                           // 000000009480: 7D8385B9
	s_nop 0                                                    // 000000009484: BF800000
	v_cndmask_b32_e32 v73, v197, v73, vcc                      // 000000009488: 009293C5
	v_add_u32_e32 v185, 42, v184                               // 00000000948C: 697370AA
	v_cmp_lt_i32_e32 vcc, v185, v194                           // 000000009490: 7D8385B9
	s_nop 0                                                    // 000000009494: BF800000
	v_cndmask_b32_e32 v74, v197, v74, vcc                      // 000000009498: 009495C5
	v_add_u32_e32 v185, 43, v184                               // 00000000949C: 697370AB
	v_cmp_lt_i32_e32 vcc, v185, v194                           // 0000000094A0: 7D8385B9
	s_nop 0                                                    // 0000000094A4: BF800000
	v_cndmask_b32_e32 v75, v197, v75, vcc                      // 0000000094A8: 009697C5
	v_add_u32_e32 v185, 48, v184                               // 0000000094AC: 697370B0
	v_cmp_lt_i32_e32 vcc, v185, v194                           // 0000000094B0: 7D8385B9
	s_nop 0                                                    // 0000000094B4: BF800000
	v_cndmask_b32_e32 v76, v197, v76, vcc                      // 0000000094B8: 009899C5
	v_add_u32_e32 v185, 49, v184                               // 0000000094BC: 697370B1
	v_cmp_lt_i32_e32 vcc, v185, v194                           // 0000000094C0: 7D8385B9
	s_nop 0                                                    // 0000000094C4: BF800000
	v_cndmask_b32_e32 v77, v197, v77, vcc                      // 0000000094C8: 009A9BC5
	v_add_u32_e32 v185, 50, v184                               // 0000000094CC: 697370B2
	v_cmp_lt_i32_e32 vcc, v185, v194                           // 0000000094D0: 7D8385B9
	s_nop 0                                                    // 0000000094D4: BF800000
	v_cndmask_b32_e32 v78, v197, v78, vcc                      // 0000000094D8: 009C9DC5
	v_add_u32_e32 v185, 51, v184                               // 0000000094DC: 697370B3
	v_cmp_lt_i32_e32 vcc, v185, v194                           // 0000000094E0: 7D8385B9
	s_nop 0                                                    // 0000000094E4: BF800000
	v_cndmask_b32_e32 v79, v197, v79, vcc                      // 0000000094E8: 009E9FC5
	v_add_u32_e32 v185, 56, v184                               // 0000000094EC: 697370B8
	v_cmp_lt_i32_e32 vcc, v185, v194                           // 0000000094F0: 7D8385B9
	s_nop 0                                                    // 0000000094F4: BF800000
	v_cndmask_b32_e32 v80, v197, v80, vcc                      // 0000000094F8: 00A0A1C5
	v_add_u32_e32 v185, 57, v184                               // 0000000094FC: 697370B9
	v_cmp_lt_i32_e32 vcc, v185, v194                           // 000000009500: 7D8385B9
	s_nop 0                                                    // 000000009504: BF800000
	v_cndmask_b32_e32 v81, v197, v81, vcc                      // 000000009508: 00A2A3C5
	v_add_u32_e32 v185, 58, v184                               // 00000000950C: 697370BA
	v_cmp_lt_i32_e32 vcc, v185, v194                           // 000000009510: 7D8385B9
	s_nop 0                                                    // 000000009514: BF800000
	v_cndmask_b32_e32 v82, v197, v82, vcc                      // 000000009518: 00A4A5C5
	v_add_u32_e32 v185, 59, v184                               // 00000000951C: 697370BB
	v_cmp_lt_i32_e32 vcc, v185, v194                           // 000000009520: 7D8385B9
	s_nop 0                                                    // 000000009524: BF800000
	v_cndmask_b32_e32 v83, v197, v83, vcc                      // 000000009528: 00A6A7C5
	v_add_u32_e32 v185, 64, v184                               // 00000000952C: 697370C0
	v_cmp_lt_i32_e32 vcc, v185, v194                           // 000000009530: 7D8385B9
	s_nop 0                                                    // 000000009534: BF800000
	v_cndmask_b32_e32 v84, v197, v84, vcc                      // 000000009538: 00A8A9C5
	v_add_u32_e32 v185, 0x41, v184                             // 00000000953C: 697370FF 00000041
	v_cmp_lt_i32_e32 vcc, v185, v194                           // 000000009544: 7D8385B9
	s_nop 0                                                    // 000000009548: BF800000
	v_cndmask_b32_e32 v85, v197, v85, vcc                      // 00000000954C: 00AAABC5
	v_add_u32_e32 v185, 0x42, v184                             // 000000009550: 697370FF 00000042
	v_cmp_lt_i32_e32 vcc, v185, v194                           // 000000009558: 7D8385B9
	s_nop 0                                                    // 00000000955C: BF800000
	v_cndmask_b32_e32 v86, v197, v86, vcc                      // 000000009560: 00ACADC5
	v_add_u32_e32 v185, 0x43, v184                             // 000000009564: 697370FF 00000043
	v_cmp_lt_i32_e32 vcc, v185, v194                           // 00000000956C: 7D8385B9
	s_nop 0                                                    // 000000009570: BF800000
	v_cndmask_b32_e32 v87, v197, v87, vcc                      // 000000009574: 00AEAFC5
	v_add_u32_e32 v185, 0x48, v184                             // 000000009578: 697370FF 00000048
	v_cmp_lt_i32_e32 vcc, v185, v194                           // 000000009580: 7D8385B9
	s_nop 0                                                    // 000000009584: BF800000
	v_cndmask_b32_e32 v88, v197, v88, vcc                      // 000000009588: 00B0B1C5
	v_add_u32_e32 v185, 0x49, v184                             // 00000000958C: 697370FF 00000049
	v_cmp_lt_i32_e32 vcc, v185, v194                           // 000000009594: 7D8385B9
	s_nop 0                                                    // 000000009598: BF800000
	v_cndmask_b32_e32 v89, v197, v89, vcc                      // 00000000959C: 00B2B3C5
	v_add_u32_e32 v185, 0x4a, v184                             // 0000000095A0: 697370FF 0000004A
	v_cmp_lt_i32_e32 vcc, v185, v194                           // 0000000095A8: 7D8385B9
	s_nop 0                                                    // 0000000095AC: BF800000
	v_cndmask_b32_e32 v90, v197, v90, vcc                      // 0000000095B0: 00B4B5C5
	v_add_u32_e32 v185, 0x4b, v184                             // 0000000095B4: 697370FF 0000004B
	v_cmp_lt_i32_e32 vcc, v185, v194                           // 0000000095BC: 7D8385B9
	s_nop 0                                                    // 0000000095C0: BF800000
	v_cndmask_b32_e32 v91, v197, v91, vcc                      // 0000000095C4: 00B6B7C5
	v_add_u32_e32 v185, 0x50, v184                             // 0000000095C8: 697370FF 00000050
	v_cmp_lt_i32_e32 vcc, v185, v194                           // 0000000095D0: 7D8385B9
	s_nop 0                                                    // 0000000095D4: BF800000
	v_cndmask_b32_e32 v92, v197, v92, vcc                      // 0000000095D8: 00B8B9C5
	v_add_u32_e32 v185, 0x51, v184                             // 0000000095DC: 697370FF 00000051
	v_cmp_lt_i32_e32 vcc, v185, v194                           // 0000000095E4: 7D8385B9
	s_nop 0                                                    // 0000000095E8: BF800000
	v_cndmask_b32_e32 v93, v197, v93, vcc                      // 0000000095EC: 00BABBC5
	v_add_u32_e32 v185, 0x52, v184                             // 0000000095F0: 697370FF 00000052
	v_cmp_lt_i32_e32 vcc, v185, v194                           // 0000000095F8: 7D8385B9
	s_nop 0                                                    // 0000000095FC: BF800000
	v_cndmask_b32_e32 v94, v197, v94, vcc                      // 000000009600: 00BCBDC5
	v_add_u32_e32 v185, 0x53, v184                             // 000000009604: 697370FF 00000053
	v_cmp_lt_i32_e32 vcc, v185, v194                           // 00000000960C: 7D8385B9
	s_nop 0                                                    // 000000009610: BF800000
	v_cndmask_b32_e32 v95, v197, v95, vcc                      // 000000009614: 00BEBFC5
	v_add_u32_e32 v185, 0x58, v184                             // 000000009618: 697370FF 00000058
	v_cmp_lt_i32_e32 vcc, v185, v194                           // 000000009620: 7D8385B9
	s_nop 0                                                    // 000000009624: BF800000
	v_cndmask_b32_e32 v96, v197, v96, vcc                      // 000000009628: 00C0C1C5
	v_add_u32_e32 v185, 0x59, v184                             // 00000000962C: 697370FF 00000059
	v_cmp_lt_i32_e32 vcc, v185, v194                           // 000000009634: 7D8385B9
	s_nop 0                                                    // 000000009638: BF800000
	v_cndmask_b32_e32 v97, v197, v97, vcc                      // 00000000963C: 00C2C3C5
	v_add_u32_e32 v185, 0x5a, v184                             // 000000009640: 697370FF 0000005A
	v_cmp_lt_i32_e32 vcc, v185, v194                           // 000000009648: 7D8385B9
	s_nop 0                                                    // 00000000964C: BF800000
	v_cndmask_b32_e32 v98, v197, v98, vcc                      // 000000009650: 00C4C5C5
	v_add_u32_e32 v185, 0x5b, v184                             // 000000009654: 697370FF 0000005B
	v_cmp_lt_i32_e32 vcc, v185, v194                           // 00000000965C: 7D8385B9
	s_nop 0                                                    // 000000009660: BF800000
	v_cndmask_b32_e32 v99, v197, v99, vcc                      // 000000009664: 00C6C7C5
	v_add_u32_e32 v185, 0x60, v184                             // 000000009668: 697370FF 00000060
	v_cmp_lt_i32_e32 vcc, v185, v194                           // 000000009670: 7D8385B9
	s_nop 0                                                    // 000000009674: BF800000
	v_cndmask_b32_e32 v100, v197, v100, vcc                    // 000000009678: 00C8C9C5
	v_add_u32_e32 v185, 0x61, v184                             // 00000000967C: 697370FF 00000061
	v_cmp_lt_i32_e32 vcc, v185, v194                           // 000000009684: 7D8385B9
	s_nop 0                                                    // 000000009688: BF800000
	v_cndmask_b32_e32 v101, v197, v101, vcc                    // 00000000968C: 00CACBC5
	v_add_u32_e32 v185, 0x62, v184                             // 000000009690: 697370FF 00000062
	v_cmp_lt_i32_e32 vcc, v185, v194                           // 000000009698: 7D8385B9
	s_nop 0                                                    // 00000000969C: BF800000
	v_cndmask_b32_e32 v102, v197, v102, vcc                    // 0000000096A0: 00CCCDC5
	v_add_u32_e32 v185, 0x63, v184                             // 0000000096A4: 697370FF 00000063
	v_cmp_lt_i32_e32 vcc, v185, v194                           // 0000000096AC: 7D8385B9
	s_nop 0                                                    // 0000000096B0: BF800000
	v_cndmask_b32_e32 v103, v197, v103, vcc                    // 0000000096B4: 00CECFC5
	v_add_u32_e32 v185, 0x68, v184                             // 0000000096B8: 697370FF 00000068
	v_cmp_lt_i32_e32 vcc, v185, v194                           // 0000000096C0: 7D8385B9
	s_nop 0                                                    // 0000000096C4: BF800000
	v_cndmask_b32_e32 v104, v197, v104, vcc                    // 0000000096C8: 00D0D1C5
	v_add_u32_e32 v185, 0x69, v184                             // 0000000096CC: 697370FF 00000069
	v_cmp_lt_i32_e32 vcc, v185, v194                           // 0000000096D4: 7D8385B9
	s_nop 0                                                    // 0000000096D8: BF800000
	v_cndmask_b32_e32 v105, v197, v105, vcc                    // 0000000096DC: 00D2D3C5
	v_add_u32_e32 v185, 0x6a, v184                             // 0000000096E0: 697370FF 0000006A
	v_cmp_lt_i32_e32 vcc, v185, v194                           // 0000000096E8: 7D8385B9
	s_nop 0                                                    // 0000000096EC: BF800000
	v_cndmask_b32_e32 v106, v197, v106, vcc                    // 0000000096F0: 00D4D5C5
	v_add_u32_e32 v185, 0x6b, v184                             // 0000000096F4: 697370FF 0000006B
	v_cmp_lt_i32_e32 vcc, v185, v194                           // 0000000096FC: 7D8385B9
	s_nop 0                                                    // 000000009700: BF800000
	v_cndmask_b32_e32 v107, v197, v107, vcc                    // 000000009704: 00D6D7C5
	v_add_u32_e32 v185, 0x70, v184                             // 000000009708: 697370FF 00000070
	v_cmp_lt_i32_e32 vcc, v185, v194                           // 000000009710: 7D8385B9
	s_nop 0                                                    // 000000009714: BF800000
	v_cndmask_b32_e32 v108, v197, v108, vcc                    // 000000009718: 00D8D9C5
	v_add_u32_e32 v185, 0x71, v184                             // 00000000971C: 697370FF 00000071
	v_cmp_lt_i32_e32 vcc, v185, v194                           // 000000009724: 7D8385B9
	s_nop 0                                                    // 000000009728: BF800000
	v_cndmask_b32_e32 v109, v197, v109, vcc                    // 00000000972C: 00DADBC5
	v_add_u32_e32 v185, 0x72, v184                             // 000000009730: 697370FF 00000072
	v_cmp_lt_i32_e32 vcc, v185, v194                           // 000000009738: 7D8385B9
	s_nop 0                                                    // 00000000973C: BF800000
	v_cndmask_b32_e32 v110, v197, v110, vcc                    // 000000009740: 00DCDDC5
	v_add_u32_e32 v185, 0x73, v184                             // 000000009744: 697370FF 00000073
	v_cmp_lt_i32_e32 vcc, v185, v194                           // 00000000974C: 7D8385B9
	s_nop 0                                                    // 000000009750: BF800000
	v_cndmask_b32_e32 v111, v197, v111, vcc                    // 000000009754: 00DEDFC5
	v_add_u32_e32 v185, 0x78, v184                             // 000000009758: 697370FF 00000078
	v_cmp_lt_i32_e32 vcc, v185, v194                           // 000000009760: 7D8385B9
	s_nop 0                                                    // 000000009764: BF800000
	v_cndmask_b32_e32 v112, v197, v112, vcc                    // 000000009768: 00E0E1C5
	v_add_u32_e32 v185, 0x79, v184                             // 00000000976C: 697370FF 00000079
	v_cmp_lt_i32_e32 vcc, v185, v194                           // 000000009774: 7D8385B9
	s_nop 0                                                    // 000000009778: BF800000
	v_cndmask_b32_e32 v113, v197, v113, vcc                    // 00000000977C: 00E2E3C5
	v_add_u32_e32 v185, 0x7a, v184                             // 000000009780: 697370FF 0000007A
	v_cmp_lt_i32_e32 vcc, v185, v194                           // 000000009788: 7D8385B9
	s_nop 0                                                    // 00000000978C: BF800000
	v_cndmask_b32_e32 v114, v197, v114, vcc                    // 000000009790: 00E4E5C5
	v_add_u32_e32 v185, 0x7b, v184                             // 000000009794: 697370FF 0000007B
	v_cmp_lt_i32_e32 vcc, v185, v194                           // 00000000979C: 7D8385B9
	s_nop 0                                                    // 0000000097A0: BF800000
	v_cndmask_b32_e32 v115, v197, v115, vcc                    // 0000000097A4: 00E6E7C5
	v_mov_b32_e32 v193, v192                                   // 0000000097A8: 7F8203C0
	v_max3_f32 v193, v52, v53, v193                            // 0000000097AC: D1D300C1 07066B34
	v_max3_f32 v193, v54, v55, v193                            // 0000000097B4: D1D300C1 07066F36
	v_max3_f32 v193, v56, v57, v193                            // 0000000097BC: D1D300C1 07067338
	v_max3_f32 v193, v58, v59, v193                            // 0000000097C4: D1D300C1 0706773A
	v_max3_f32 v193, v60, v61, v193                            // 0000000097CC: D1D300C1 07067B3C
	v_max3_f32 v193, v62, v63, v193                            // 0000000097D4: D1D300C1 07067F3E
	v_max3_f32 v193, v64, v65, v193                            // 0000000097DC: D1D300C1 07068340
	v_max3_f32 v193, v66, v67, v193                            // 0000000097E4: D1D300C1 07068742
	v_max3_f32 v193, v68, v69, v193                            // 0000000097EC: D1D300C1 07068B44
	v_max3_f32 v193, v70, v71, v193                            // 0000000097F4: D1D300C1 07068F46
	v_max3_f32 v193, v72, v73, v193                            // 0000000097FC: D1D300C1 07069348
	v_max3_f32 v193, v74, v75, v193                            // 000000009804: D1D300C1 0706974A
	v_max3_f32 v193, v76, v77, v193                            // 00000000980C: D1D300C1 07069B4C
	v_max3_f32 v193, v78, v79, v193                            // 000000009814: D1D300C1 07069F4E
	v_max3_f32 v193, v80, v81, v193                            // 00000000981C: D1D300C1 0706A350
	v_max3_f32 v193, v82, v83, v193                            // 000000009824: D1D300C1 0706A752
	v_max3_f32 v193, v84, v85, v193                            // 00000000982C: D1D300C1 0706AB54
	v_max3_f32 v193, v86, v87, v193                            // 000000009834: D1D300C1 0706AF56
	v_max3_f32 v193, v88, v89, v193                            // 00000000983C: D1D300C1 0706B358
	v_max3_f32 v193, v90, v91, v193                            // 000000009844: D1D300C1 0706B75A
	v_max3_f32 v193, v92, v93, v193                            // 00000000984C: D1D300C1 0706BB5C
	v_max3_f32 v193, v94, v95, v193                            // 000000009854: D1D300C1 0706BF5E
	v_max3_f32 v193, v96, v97, v193                            // 00000000985C: D1D300C1 0706C360
	v_max3_f32 v193, v98, v99, v193                            // 000000009864: D1D300C1 0706C762
	v_max3_f32 v193, v100, v101, v193                          // 00000000986C: D1D300C1 0706CB64
	v_max3_f32 v193, v102, v103, v193                          // 000000009874: D1D300C1 0706CF66
	v_max3_f32 v193, v104, v105, v193                          // 00000000987C: D1D300C1 0706D368
	v_max3_f32 v193, v106, v107, v193                          // 000000009884: D1D300C1 0706D76A
	v_max3_f32 v193, v108, v109, v193                          // 00000000988C: D1D300C1 0706DB6C
	v_max3_f32 v193, v110, v111, v193                          // 000000009894: D1D300C1 0706DF6E
	v_max3_f32 v193, v112, v113, v193                          // 00000000989C: D1D300C1 0706E370
	v_max3_f32 v193, v114, v115, v193                          // 0000000098A4: D1D300C1 0706E772
	v_mov_b32_e32 v184, v193                                   // 0000000098AC: 7F7003C1
	s_nop 1                                                    // 0000000098B0: BF800001
	s_nop 0                                                    // 0000000098B4: BF800000
	v_permlane32_swap_b32_e32 v184, v193                       // 0000000098B8: 7F70B5C1
	v_max_f32_e32 v193, v193, v184                             // 0000000098BC: 178371C1
	v_cmp_eq_u32_e64 s[66:67], v197, v193                      // 0000000098C0: D0CA0042 000383C5
	s_nop 0                                                    // 0000000098C8: BF800000
	v_cndmask_b32_e64 v193, v193, 0, s[66:67]                  // 0000000098CC: D10000C1 010901C1
	v_mul_f32_e64 v184, -s26, v193                             // 0000000098D4: D10500B8 2003821A
	v_mov_b32_e32 v185, v184                                   // 0000000098DC: 7F7203B8
	v_pk_fma_f32 v[52:53], v[52:53], s[26:27], v[184:185]      // 0000000098E0: D3B04034 1EE03534
	v_pk_fma_f32 v[54:55], v[54:55], s[26:27], v[184:185]      // 0000000098E8: D3B04036 1EE03536
	v_pk_fma_f32 v[56:57], v[56:57], s[26:27], v[184:185]      // 0000000098F0: D3B04038 1EE03538
	v_pk_fma_f32 v[58:59], v[58:59], s[26:27], v[184:185]      // 0000000098F8: D3B0403A 1EE0353A
	v_pk_fma_f32 v[60:61], v[60:61], s[26:27], v[184:185]      // 000000009900: D3B0403C 1EE0353C
	v_pk_fma_f32 v[62:63], v[62:63], s[26:27], v[184:185]      // 000000009908: D3B0403E 1EE0353E
	v_pk_fma_f32 v[64:65], v[64:65], s[26:27], v[184:185]      // 000000009910: D3B04040 1EE03540
	v_pk_fma_f32 v[66:67], v[66:67], s[26:27], v[184:185]      // 000000009918: D3B04042 1EE03542
	v_pk_fma_f32 v[68:69], v[68:69], s[26:27], v[184:185]      // 000000009920: D3B04044 1EE03544
	v_pk_fma_f32 v[70:71], v[70:71], s[26:27], v[184:185]      // 000000009928: D3B04046 1EE03546
	v_pk_fma_f32 v[72:73], v[72:73], s[26:27], v[184:185]      // 000000009930: D3B04048 1EE03548
	v_pk_fma_f32 v[74:75], v[74:75], s[26:27], v[184:185]      // 000000009938: D3B0404A 1EE0354A
	v_pk_fma_f32 v[76:77], v[76:77], s[26:27], v[184:185]      // 000000009940: D3B0404C 1EE0354C
	v_pk_fma_f32 v[78:79], v[78:79], s[26:27], v[184:185]      // 000000009948: D3B0404E 1EE0354E
	v_pk_fma_f32 v[80:81], v[80:81], s[26:27], v[184:185]      // 000000009950: D3B04050 1EE03550
	v_pk_fma_f32 v[82:83], v[82:83], s[26:27], v[184:185]      // 000000009958: D3B04052 1EE03552
	v_pk_fma_f32 v[84:85], v[84:85], s[26:27], v[184:185]      // 000000009960: D3B04054 1EE03554
	v_pk_fma_f32 v[86:87], v[86:87], s[26:27], v[184:185]      // 000000009968: D3B04056 1EE03556
	v_pk_fma_f32 v[88:89], v[88:89], s[26:27], v[184:185]      // 000000009970: D3B04058 1EE03558
	v_pk_fma_f32 v[90:91], v[90:91], s[26:27], v[184:185]      // 000000009978: D3B0405A 1EE0355A
	v_pk_fma_f32 v[92:93], v[92:93], s[26:27], v[184:185]      // 000000009980: D3B0405C 1EE0355C
	v_pk_fma_f32 v[94:95], v[94:95], s[26:27], v[184:185]      // 000000009988: D3B0405E 1EE0355E
	v_pk_fma_f32 v[96:97], v[96:97], s[26:27], v[184:185]      // 000000009990: D3B04060 1EE03560
	v_pk_fma_f32 v[98:99], v[98:99], s[26:27], v[184:185]      // 000000009998: D3B04062 1EE03562
	v_pk_fma_f32 v[100:101], v[100:101], s[26:27], v[184:185]  // 0000000099A0: D3B04064 1EE03564
	v_pk_fma_f32 v[102:103], v[102:103], s[26:27], v[184:185]  // 0000000099A8: D3B04066 1EE03566
	v_pk_fma_f32 v[104:105], v[104:105], s[26:27], v[184:185]  // 0000000099B0: D3B04068 1EE03568
	v_pk_fma_f32 v[106:107], v[106:107], s[26:27], v[184:185]  // 0000000099B8: D3B0406A 1EE0356A
	v_pk_fma_f32 v[108:109], v[108:109], s[26:27], v[184:185]  // 0000000099C0: D3B0406C 1EE0356C
	v_pk_fma_f32 v[110:111], v[110:111], s[26:27], v[184:185]  // 0000000099C8: D3B0406E 1EE0356E
	v_pk_fma_f32 v[112:113], v[112:113], s[26:27], v[184:185]  // 0000000099D0: D3B04070 1EE03570
	v_pk_fma_f32 v[114:115], v[114:115], s[26:27], v[184:185]  // 0000000099D8: D3B04072 1EE03572
	s_barrier                                                  // 0000000099E0: BF8A0000
	v_exp_f32_e32 v52, v52                                     // 0000000099E4: 7E684134
	v_exp_f32_e32 v53, v53                                     // 0000000099E8: 7E6A4135
	v_exp_f32_e32 v54, v54                                     // 0000000099EC: 7E6C4136
	v_exp_f32_e32 v55, v55                                     // 0000000099F0: 7E6E4137
	v_exp_f32_e32 v56, v56                                     // 0000000099F4: 7E704138
	v_exp_f32_e32 v57, v57                                     // 0000000099F8: 7E724139
	v_exp_f32_e32 v58, v58                                     // 0000000099FC: 7E74413A
	v_exp_f32_e32 v59, v59                                     // 000000009A00: 7E76413B
	v_exp_f32_e32 v60, v60                                     // 000000009A04: 7E78413C
	v_exp_f32_e32 v61, v61                                     // 000000009A08: 7E7A413D
	v_exp_f32_e32 v62, v62                                     // 000000009A0C: 7E7C413E
	v_exp_f32_e32 v63, v63                                     // 000000009A10: 7E7E413F
	v_exp_f32_e32 v64, v64                                     // 000000009A14: 7E804140
	v_exp_f32_e32 v65, v65                                     // 000000009A18: 7E824141
	v_exp_f32_e32 v66, v66                                     // 000000009A1C: 7E844142
	v_exp_f32_e32 v67, v67                                     // 000000009A20: 7E864143
	v_exp_f32_e32 v68, v68                                     // 000000009A24: 7E884144
	v_exp_f32_e32 v69, v69                                     // 000000009A28: 7E8A4145
	v_exp_f32_e32 v70, v70                                     // 000000009A2C: 7E8C4146
	v_exp_f32_e32 v71, v71                                     // 000000009A30: 7E8E4147
	v_exp_f32_e32 v72, v72                                     // 000000009A34: 7E904148
	v_exp_f32_e32 v73, v73                                     // 000000009A38: 7E924149
	v_exp_f32_e32 v74, v74                                     // 000000009A3C: 7E94414A
	v_exp_f32_e32 v75, v75                                     // 000000009A40: 7E96414B
	v_exp_f32_e32 v76, v76                                     // 000000009A44: 7E98414C
	v_exp_f32_e32 v77, v77                                     // 000000009A48: 7E9A414D
	v_exp_f32_e32 v78, v78                                     // 000000009A4C: 7E9C414E
	v_exp_f32_e32 v79, v79                                     // 000000009A50: 7E9E414F
	v_exp_f32_e32 v80, v80                                     // 000000009A54: 7EA04150
	v_exp_f32_e32 v81, v81                                     // 000000009A58: 7EA24151
	v_exp_f32_e32 v82, v82                                     // 000000009A5C: 7EA44152
	v_exp_f32_e32 v83, v83                                     // 000000009A60: 7EA64153
	v_exp_f32_e32 v84, v84                                     // 000000009A64: 7EA84154
	v_exp_f32_e32 v85, v85                                     // 000000009A68: 7EAA4155
	v_exp_f32_e32 v86, v86                                     // 000000009A6C: 7EAC4156
	v_exp_f32_e32 v87, v87                                     // 000000009A70: 7EAE4157
	v_exp_f32_e32 v88, v88                                     // 000000009A74: 7EB04158
	v_exp_f32_e32 v89, v89                                     // 000000009A78: 7EB24159
	v_exp_f32_e32 v90, v90                                     // 000000009A7C: 7EB4415A
	v_exp_f32_e32 v91, v91                                     // 000000009A80: 7EB6415B
	v_exp_f32_e32 v92, v92                                     // 000000009A84: 7EB8415C
	v_exp_f32_e32 v93, v93                                     // 000000009A88: 7EBA415D
	v_exp_f32_e32 v94, v94                                     // 000000009A8C: 7EBC415E
	v_exp_f32_e32 v95, v95                                     // 000000009A90: 7EBE415F
	v_exp_f32_e32 v96, v96                                     // 000000009A94: 7EC04160
	v_exp_f32_e32 v97, v97                                     // 000000009A98: 7EC24161
	v_exp_f32_e32 v98, v98                                     // 000000009A9C: 7EC44162
	v_exp_f32_e32 v99, v99                                     // 000000009AA0: 7EC64163
	v_exp_f32_e32 v100, v100                                   // 000000009AA4: 7EC84164
	v_exp_f32_e32 v101, v101                                   // 000000009AA8: 7ECA4165
	v_exp_f32_e32 v102, v102                                   // 000000009AAC: 7ECC4166
	v_exp_f32_e32 v103, v103                                   // 000000009AB0: 7ECE4167
	v_exp_f32_e32 v104, v104                                   // 000000009AB4: 7ED04168
	v_exp_f32_e32 v105, v105                                   // 000000009AB8: 7ED24169
	v_exp_f32_e32 v106, v106                                   // 000000009ABC: 7ED4416A
	v_exp_f32_e32 v107, v107                                   // 000000009AC0: 7ED6416B
	v_exp_f32_e32 v108, v108                                   // 000000009AC4: 7ED8416C
	v_exp_f32_e32 v109, v109                                   // 000000009AC8: 7EDA416D
	v_exp_f32_e32 v110, v110                                   // 000000009ACC: 7EDC416E
	v_exp_f32_e32 v111, v111                                   // 000000009AD0: 7EDE416F
	v_exp_f32_e32 v112, v112                                   // 000000009AD4: 7EE04170
	v_exp_f32_e32 v113, v113                                   // 000000009AD8: 7EE24171
	v_exp_f32_e32 v114, v114                                   // 000000009ADC: 7EE44172
	v_exp_f32_e32 v115, v115                                   // 000000009AE0: 7EE64173
	v_sub_f32_e32 v188, v192, v193                             // 000000009AE4: 057983C0
	v_cmp_eq_u32_e64 s[66:67], v197, v192                      // 000000009AE8: D0CA0042 000381C5
	s_nop 0                                                    // 000000009AF0: BF800000
	v_cndmask_b32_e64 v188, v188, 0, s[66:67]                  // 000000009AF4: D10000BC 010901BC
	v_mov_b32_e32 v192, v193                                   // 000000009AFC: 7F8003C1
	v_mul_f32_e32 v188, s26, v188                              // 000000009B00: 0B79781A
	v_exp_f32_e32 v188, v188                                   // 000000009B04: 7F7841BC
	s_nop 0                                                    // 000000009B08: BF800000
	v_mul_f32_e32 v190, v188, v190                             // 000000009B0C: 0B7D7DBC
	v_add_f32_e32 v190, v52, v190                              // 000000009B10: 037D7D34
	v_add_f32_e32 v190, v53, v190                              // 000000009B14: 037D7D35
	v_add_f32_e32 v190, v54, v190                              // 000000009B18: 037D7D36
	v_add_f32_e32 v190, v55, v190                              // 000000009B1C: 037D7D37
	v_add_f32_e32 v190, v56, v190                              // 000000009B20: 037D7D38
	v_add_f32_e32 v190, v57, v190                              // 000000009B24: 037D7D39
	v_add_f32_e32 v190, v58, v190                              // 000000009B28: 037D7D3A
	v_add_f32_e32 v190, v59, v190                              // 000000009B2C: 037D7D3B
	v_add_f32_e32 v190, v60, v190                              // 000000009B30: 037D7D3C
	v_add_f32_e32 v190, v61, v190                              // 000000009B34: 037D7D3D
	v_add_f32_e32 v190, v62, v190                              // 000000009B38: 037D7D3E
	v_add_f32_e32 v190, v63, v190                              // 000000009B3C: 037D7D3F
	v_add_f32_e32 v190, v64, v190                              // 000000009B40: 037D7D40
	v_add_f32_e32 v190, v65, v190                              // 000000009B44: 037D7D41
	v_add_f32_e32 v190, v66, v190                              // 000000009B48: 037D7D42
	v_add_f32_e32 v190, v67, v190                              // 000000009B4C: 037D7D43
	v_add_f32_e32 v190, v68, v190                              // 000000009B50: 037D7D44
	v_add_f32_e32 v190, v69, v190                              // 000000009B54: 037D7D45
	v_add_f32_e32 v190, v70, v190                              // 000000009B58: 037D7D46
	v_add_f32_e32 v190, v71, v190                              // 000000009B5C: 037D7D47
	v_add_f32_e32 v190, v72, v190                              // 000000009B60: 037D7D48
	v_add_f32_e32 v190, v73, v190                              // 000000009B64: 037D7D49
	v_add_f32_e32 v190, v74, v190                              // 000000009B68: 037D7D4A
	v_add_f32_e32 v190, v75, v190                              // 000000009B6C: 037D7D4B
	v_add_f32_e32 v190, v76, v190                              // 000000009B70: 037D7D4C
	v_add_f32_e32 v190, v77, v190                              // 000000009B74: 037D7D4D
	v_add_f32_e32 v190, v78, v190                              // 000000009B78: 037D7D4E
	v_add_f32_e32 v190, v79, v190                              // 000000009B7C: 037D7D4F
	v_add_f32_e32 v190, v80, v190                              // 000000009B80: 037D7D50
	v_add_f32_e32 v190, v81, v190                              // 000000009B84: 037D7D51
	v_add_f32_e32 v190, v82, v190                              // 000000009B88: 037D7D52
	v_add_f32_e32 v190, v83, v190                              // 000000009B8C: 037D7D53
	v_add_f32_e32 v190, v84, v190                              // 000000009B90: 037D7D54
	v_add_f32_e32 v190, v85, v190                              // 000000009B94: 037D7D55
	v_add_f32_e32 v190, v86, v190                              // 000000009B98: 037D7D56
	v_add_f32_e32 v190, v87, v190                              // 000000009B9C: 037D7D57
	v_add_f32_e32 v190, v88, v190                              // 000000009BA0: 037D7D58
	v_add_f32_e32 v190, v89, v190                              // 000000009BA4: 037D7D59
	v_add_f32_e32 v190, v90, v190                              // 000000009BA8: 037D7D5A
	v_add_f32_e32 v190, v91, v190                              // 000000009BAC: 037D7D5B
	v_add_f32_e32 v190, v92, v190                              // 000000009BB0: 037D7D5C
	v_add_f32_e32 v190, v93, v190                              // 000000009BB4: 037D7D5D
	v_add_f32_e32 v190, v94, v190                              // 000000009BB8: 037D7D5E
	v_add_f32_e32 v190, v95, v190                              // 000000009BBC: 037D7D5F
	v_add_f32_e32 v190, v96, v190                              // 000000009BC0: 037D7D60
	v_add_f32_e32 v190, v97, v190                              // 000000009BC4: 037D7D61
	v_add_f32_e32 v190, v98, v190                              // 000000009BC8: 037D7D62
	v_add_f32_e32 v190, v99, v190                              // 000000009BCC: 037D7D63
	v_add_f32_e32 v190, v100, v190                             // 000000009BD0: 037D7D64
	v_add_f32_e32 v190, v101, v190                             // 000000009BD4: 037D7D65
	v_add_f32_e32 v190, v102, v190                             // 000000009BD8: 037D7D66
	v_add_f32_e32 v190, v103, v190                             // 000000009BDC: 037D7D67
	v_add_f32_e32 v190, v104, v190                             // 000000009BE0: 037D7D68
	v_add_f32_e32 v190, v105, v190                             // 000000009BE4: 037D7D69
	v_add_f32_e32 v190, v106, v190                             // 000000009BE8: 037D7D6A
	v_add_f32_e32 v190, v107, v190                             // 000000009BEC: 037D7D6B
	v_add_f32_e32 v190, v108, v190                             // 000000009BF0: 037D7D6C
	v_add_f32_e32 v190, v109, v190                             // 000000009BF4: 037D7D6D
	v_add_f32_e32 v190, v110, v190                             // 000000009BF8: 037D7D6E
	v_add_f32_e32 v190, v111, v190                             // 000000009BFC: 037D7D6F
	v_add_f32_e32 v190, v112, v190                             // 000000009C00: 037D7D70
	v_add_f32_e32 v190, v113, v190                             // 000000009C04: 037D7D71
	v_add_f32_e32 v190, v114, v190                             // 000000009C08: 037D7D72
	v_add_f32_e32 v190, v115, v190                             // 000000009C0C: 037D7D73
	v_mul_f32_e32 v116, v188, v116                             // 000000009C10: 0AE8E9BC
	v_mul_f32_e32 v117, v188, v117                             // 000000009C14: 0AEAEBBC
	v_mul_f32_e32 v118, v188, v118                             // 000000009C18: 0AECEDBC
	v_mul_f32_e32 v119, v188, v119                             // 000000009C1C: 0AEEEFBC
	v_mul_f32_e32 v120, v188, v120                             // 000000009C20: 0AF0F1BC
	v_mul_f32_e32 v121, v188, v121                             // 000000009C24: 0AF2F3BC
	v_mul_f32_e32 v122, v188, v122                             // 000000009C28: 0AF4F5BC
	v_mul_f32_e32 v123, v188, v123                             // 000000009C2C: 0AF6F7BC
	v_mul_f32_e32 v124, v188, v124                             // 000000009C30: 0AF8F9BC
	v_mul_f32_e32 v125, v188, v125                             // 000000009C34: 0AFAFBBC
	v_mul_f32_e32 v126, v188, v126                             // 000000009C38: 0AFCFDBC
	v_mul_f32_e32 v127, v188, v127                             // 000000009C3C: 0AFEFFBC
	v_mul_f32_e32 v128, v188, v128                             // 000000009C40: 0B0101BC
	v_mul_f32_e32 v129, v188, v129                             // 000000009C44: 0B0303BC
	v_mul_f32_e32 v130, v188, v130                             // 000000009C48: 0B0505BC
	v_mul_f32_e32 v131, v188, v131                             // 000000009C4C: 0B0707BC
	v_mul_f32_e32 v132, v188, v132                             // 000000009C50: 0B0909BC
	v_mul_f32_e32 v133, v188, v133                             // 000000009C54: 0B0B0BBC
	v_mul_f32_e32 v134, v188, v134                             // 000000009C58: 0B0D0DBC
	v_mul_f32_e32 v135, v188, v135                             // 000000009C5C: 0B0F0FBC
	v_mul_f32_e32 v136, v188, v136                             // 000000009C60: 0B1111BC
	v_mul_f32_e32 v137, v188, v137                             // 000000009C64: 0B1313BC
	v_mul_f32_e32 v138, v188, v138                             // 000000009C68: 0B1515BC
	v_mul_f32_e32 v139, v188, v139                             // 000000009C6C: 0B1717BC
	v_mul_f32_e32 v140, v188, v140                             // 000000009C70: 0B1919BC
	s_waitcnt vmcnt(0)                                         // 000000009C74: BF8C0F70
	s_barrier                                                  // 000000009C78: BF8A0000
	v_mul_f32_e32 v141, v188, v141                             // 000000009C7C: 0B1B1BBC
	v_mul_f32_e32 v142, v188, v142                             // 000000009C80: 0B1D1DBC
	v_mul_f32_e32 v143, v188, v143                             // 000000009C84: 0B1F1FBC
	v_mul_f32_e32 v144, v188, v144                             // 000000009C88: 0B2121BC
	v_mul_f32_e32 v145, v188, v145                             // 000000009C8C: 0B2323BC
	v_mul_f32_e32 v146, v188, v146                             // 000000009C90: 0B2525BC
	v_mul_f32_e32 v147, v188, v147                             // 000000009C94: 0B2727BC
	v_mul_f32_e32 v148, v188, v148                             // 000000009C98: 0B2929BC
	v_mul_f32_e32 v149, v188, v149                             // 000000009C9C: 0B2B2BBC
	v_mul_f32_e32 v150, v188, v150                             // 000000009CA0: 0B2D2DBC
	v_mul_f32_e32 v151, v188, v151                             // 000000009CA4: 0B2F2FBC
	v_mul_f32_e32 v152, v188, v152                             // 000000009CA8: 0B3131BC
	v_mul_f32_e32 v153, v188, v153                             // 000000009CAC: 0B3333BC
	v_mul_f32_e32 v154, v188, v154                             // 000000009CB0: 0B3535BC
	v_mul_f32_e32 v155, v188, v155                             // 000000009CB4: 0B3737BC
	v_mul_f32_e32 v156, v188, v156                             // 000000009CB8: 0B3939BC
	v_mul_f32_e32 v157, v188, v157                             // 000000009CBC: 0B3B3BBC
	v_mul_f32_e32 v158, v188, v158                             // 000000009CC0: 0B3D3DBC
	v_mul_f32_e32 v159, v188, v159                             // 000000009CC4: 0B3F3FBC
	v_mul_f32_e32 v160, v188, v160                             // 000000009CC8: 0B4141BC
	v_mul_f32_e32 v161, v188, v161                             // 000000009CCC: 0B4343BC
	v_mul_f32_e32 v162, v188, v162                             // 000000009CD0: 0B4545BC
	v_mul_f32_e32 v163, v188, v163                             // 000000009CD4: 0B4747BC
	v_mul_f32_e32 v164, v188, v164                             // 000000009CD8: 0B4949BC
	v_mul_f32_e32 v165, v188, v165                             // 000000009CDC: 0B4B4BBC
	v_mul_f32_e32 v166, v188, v166                             // 000000009CE0: 0B4D4DBC
	v_mul_f32_e32 v167, v188, v167                             // 000000009CE4: 0B4F4FBC
	v_mul_f32_e32 v168, v188, v168                             // 000000009CE8: 0B5151BC
	v_mul_f32_e32 v169, v188, v169                             // 000000009CEC: 0B5353BC
	v_mul_f32_e32 v170, v188, v170                             // 000000009CF0: 0B5555BC
	v_mul_f32_e32 v171, v188, v171                             // 000000009CF4: 0B5757BC
	v_mul_f32_e32 v172, v188, v172                             // 000000009CF8: 0B5959BC
	v_mul_f32_e32 v173, v188, v173                             // 000000009CFC: 0B5B5BBC
	v_mul_f32_e32 v174, v188, v174                             // 000000009D00: 0B5D5DBC
	v_mul_f32_e32 v175, v188, v175                             // 000000009D04: 0B5F5FBC
	v_mul_f32_e32 v176, v188, v176                             // 000000009D08: 0B6161BC
	v_mul_f32_e32 v177, v188, v177                             // 000000009D0C: 0B6363BC
	v_mul_f32_e32 v178, v188, v178                             // 000000009D10: 0B6565BC
	v_mul_f32_e32 v179, v188, v179                             // 000000009D14: 0B6767BC
	s_barrier                                                  // 000000009D18: BF8A0000
	v_cvt_pk_fp8_f32 v52, v52, v53                             // 000000009D1C: D2A20034 00026B34
	v_cvt_pk_fp8_f32 v52, v54, v55 op_sel:[0,0,1]              // 000000009D24: D2A24034 00026F36
	v_cvt_pk_fp8_f32 v53, v56, v57                             // 000000009D2C: D2A20035 00027338
	v_cvt_pk_fp8_f32 v53, v58, v59 op_sel:[0,0,1]              // 000000009D34: D2A24035 0002773A
	v_cvt_pk_fp8_f32 v54, v60, v61                             // 000000009D3C: D2A20036 00027B3C
	v_cvt_pk_fp8_f32 v54, v62, v63 op_sel:[0,0,1]              // 000000009D44: D2A24036 00027F3E
	v_cvt_pk_fp8_f32 v55, v64, v65                             // 000000009D4C: D2A20037 00028340
	v_cvt_pk_fp8_f32 v55, v66, v67 op_sel:[0,0,1]              // 000000009D54: D2A24037 00028742
	v_cvt_pk_fp8_f32 v56, v68, v69                             // 000000009D5C: D2A20038 00028B44
	v_cvt_pk_fp8_f32 v56, v70, v71 op_sel:[0,0,1]              // 000000009D64: D2A24038 00028F46
	v_cvt_pk_fp8_f32 v57, v72, v73                             // 000000009D6C: D2A20039 00029348
	v_cvt_pk_fp8_f32 v57, v74, v75 op_sel:[0,0,1]              // 000000009D74: D2A24039 0002974A
	v_cvt_pk_fp8_f32 v58, v76, v77                             // 000000009D7C: D2A2003A 00029B4C
	v_cvt_pk_fp8_f32 v58, v78, v79 op_sel:[0,0,1]              // 000000009D84: D2A2403A 00029F4E
	v_cvt_pk_fp8_f32 v59, v80, v81                             // 000000009D8C: D2A2003B 0002A350
	v_cvt_pk_fp8_f32 v59, v82, v83 op_sel:[0,0,1]              // 000000009D94: D2A2403B 0002A752
	v_cvt_pk_fp8_f32 v60, v84, v85                             // 000000009D9C: D2A2003C 0002AB54
	v_cvt_pk_fp8_f32 v60, v86, v87 op_sel:[0,0,1]              // 000000009DA4: D2A2403C 0002AF56
	v_cvt_pk_fp8_f32 v61, v88, v89                             // 000000009DAC: D2A2003D 0002B358
	v_cvt_pk_fp8_f32 v61, v90, v91 op_sel:[0,0,1]              // 000000009DB4: D2A2403D 0002B75A
	v_cvt_pk_fp8_f32 v62, v92, v93                             // 000000009DBC: D2A2003E 0002BB5C
	v_cvt_pk_fp8_f32 v62, v94, v95 op_sel:[0,0,1]              // 000000009DC4: D2A2403E 0002BF5E
	v_cvt_pk_fp8_f32 v63, v96, v97                             // 000000009DCC: D2A2003F 0002C360
	v_cvt_pk_fp8_f32 v63, v98, v99 op_sel:[0,0,1]              // 000000009DD4: D2A2403F 0002C762
	v_cvt_pk_fp8_f32 v64, v100, v101                           // 000000009DDC: D2A20040 0002CB64
	v_cvt_pk_fp8_f32 v64, v102, v103 op_sel:[0,0,1]            // 000000009DE4: D2A24040 0002CF66
	v_cvt_pk_fp8_f32 v65, v104, v105                           // 000000009DEC: D2A20041 0002D368
	v_cvt_pk_fp8_f32 v65, v106, v107 op_sel:[0,0,1]            // 000000009DF4: D2A24041 0002D76A
	v_cvt_pk_fp8_f32 v66, v108, v109                           // 000000009DFC: D2A20042 0002DB6C
	v_cvt_pk_fp8_f32 v66, v110, v111 op_sel:[0,0,1]            // 000000009E04: D2A24042 0002DF6E
	v_cvt_pk_fp8_f32 v67, v112, v113                           // 000000009E0C: D2A20043 0002E370
	v_cvt_pk_fp8_f32 v67, v114, v115 op_sel:[0,0,1]            // 000000009E14: D2A24043 0002E772
	s_barrier                                                  // 000000009E1C: BF8A0000
	s_waitcnt lgkmcnt(8)                                       // 000000009E20: BF8CC87F
	s_setprio 1                                                // 000000009E24: BF8F0001
	s_barrier                                                  // 000000009E28: BF8A0000
	v_mfma_f32_32x32x64_f8f6f4 v[116:131], v[20:27], v[52:59], v[116:131]// 000000009E2C: D3AE0074 05D26914
	ds_read_b64_tr_b8 v[36:37], v219 offset:16672              // 000000009E34: D9C44120 240000DB
	ds_read_b64_tr_b8 v[38:39], v219 offset:16928              // 000000009E3C: D9C44220 260000DB
	ds_read_b64_tr_b8 v[40:41], v219 offset:17184              // 000000009E44: D9C44320 280000DB
	ds_read_b64_tr_b8 v[42:43], v219 offset:17440              // 000000009E4C: D9C44420 2A0000DB
	s_waitcnt lgkmcnt(8)                                       // 000000009E54: BF8CC87F
	v_mfma_f32_32x32x64_f8f6f4 v[116:131], v[28:35], v[60:67], v[116:131]// 000000009E58: D3AE0074 05D2791C
	ds_read_b64_tr_b8 v[44:45], v219 offset:24992              // 000000009E60: D9C461A0 2C0000DB
	ds_read_b64_tr_b8 v[46:47], v219 offset:25248              // 000000009E68: D9C462A0 2E0000DB
	ds_read_b64_tr_b8 v[48:49], v219 offset:25504              // 000000009E70: D9C463A0 300000DB
	ds_read_b64_tr_b8 v[50:51], v219 offset:25760              // 000000009E78: D9C464A0 320000DB
	s_waitcnt lgkmcnt(8)                                       // 000000009E80: BF8CC87F
	v_mfma_f32_32x32x64_f8f6f4 v[132:147], v[36:43], v[52:59], v[132:147]// 000000009E84: D3AE0084 06126924
	ds_read_b64_tr_b8 v[20:21], v219 offset:16704              // 000000009E8C: D9C44140 140000DB
	ds_read_b64_tr_b8 v[22:23], v219 offset:16960              // 000000009E94: D9C44240 160000DB
	ds_read_b64_tr_b8 v[24:25], v219 offset:17216              // 000000009E9C: D9C44340 180000DB
	ds_read_b64_tr_b8 v[26:27], v219 offset:17472              // 000000009EA4: D9C44440 1A0000DB
	s_waitcnt lgkmcnt(8)                                       // 000000009EAC: BF8CC87F
	v_mfma_f32_32x32x64_f8f6f4 v[132:147], v[44:51], v[60:67], v[132:147]// 000000009EB0: D3AE0084 0612792C
	ds_read_b64_tr_b8 v[28:29], v219 offset:25024              // 000000009EB8: D9C461C0 1C0000DB
	ds_read_b64_tr_b8 v[30:31], v219 offset:25280              // 000000009EC0: D9C462C0 1E0000DB
	ds_read_b64_tr_b8 v[32:33], v219 offset:25536              // 000000009EC8: D9C463C0 200000DB
	ds_read_b64_tr_b8 v[34:35], v219 offset:25792              // 000000009ED0: D9C464C0 220000DB
	s_waitcnt lgkmcnt(8)                                       // 000000009ED8: BF8CC87F
	v_mfma_f32_32x32x64_f8f6f4 v[148:163], v[20:27], v[52:59], v[148:163]// 000000009EDC: D3AE0094 06526914
	ds_read_b64_tr_b8 v[36:37], v219 offset:16736              // 000000009EE4: D9C44160 240000DB
	ds_read_b64_tr_b8 v[38:39], v219 offset:16992              // 000000009EEC: D9C44260 260000DB
	ds_read_b64_tr_b8 v[40:41], v219 offset:17248              // 000000009EF4: D9C44360 280000DB
	ds_read_b64_tr_b8 v[42:43], v219 offset:17504              // 000000009EFC: D9C44460 2A0000DB
	s_waitcnt lgkmcnt(8)                                       // 000000009F04: BF8CC87F
	v_mfma_f32_32x32x64_f8f6f4 v[148:163], v[28:35], v[60:67], v[148:163]// 000000009F08: D3AE0094 0652791C
	ds_read_b64_tr_b8 v[44:45], v219 offset:25056              // 000000009F10: D9C461E0 2C0000DB
	ds_read_b64_tr_b8 v[46:47], v219 offset:25312              // 000000009F18: D9C462E0 2E0000DB
	ds_read_b64_tr_b8 v[48:49], v219 offset:25568              // 000000009F20: D9C463E0 300000DB
	ds_read_b64_tr_b8 v[50:51], v219 offset:25824              // 000000009F28: D9C464E0 320000DB
	s_waitcnt lgkmcnt(8)                                       // 000000009F30: BF8CC87F
	v_mfma_f32_32x32x64_f8f6f4 v[164:179], v[36:43], v[52:59], v[164:179]// 000000009F34: D3AE00A4 06926924
	ds_read_b128 v[20:23], v218                                // 000000009F3C: D9FE0000 140000DA
	ds_read_b128 v[24:27], v218 offset:32                      // 000000009F44: D9FE0020 180000DA
	s_waitcnt lgkmcnt(6)                                       // 000000009F4C: BF8CC67F
	v_mfma_f32_32x32x64_f8f6f4 v[164:179], v[44:51], v[60:67], v[164:179]// 000000009F50: D3AE00A4 0692792C
	ds_read_b128 v[28:31], v218 offset:4160                    // 000000009F58: D9FE1040 1C0000DA
	ds_read_b128 v[32:35], v218 offset:4192                    // 000000009F60: D9FE1060 200000DA
	s_addk_i32 s68, 0x80                                       // 000000009F68: B7440080
	s_branch label_48BC                                        // 000000009F6C: BF82F913

0000000000009f70 <label_6470>:
	s_barrier                                                  // 000000009F70: BF8A0000
	s_barrier                                                  // 000000009F74: BF8A0000
	s_barrier                                                  // 000000009F78: BF8A0000
	s_barrier                                                  // 000000009F7C: BF8A0000

0000000000009f80 <label_6480>:
	v_mov_b32_e32 v184, v190                                   // 000000009F80: 7F7003BE
	s_nop 1                                                    // 000000009F84: BF800001
	v_permlane32_swap_b32_e32 v184, v190                       // 000000009F88: 7F70B5BE
	v_add_f32_e32 v190, v190, v184                             // 000000009F8C: 037D71BE
	v_rcp_f32_e32 v186, v190                                   // 000000009F90: 7F7445BE
	v_cmp_eq_u32_e64 s[66:67], 0, v190                         // 000000009F94: D0CA0042 00037C80
	s_nop 0                                                    // 000000009F9C: BF800000
	v_cndmask_b32_e64 v186, v186, 0, s[66:67]                  // 000000009FA0: D10000BA 010901BA
	v_mul_f32_e32 v186, s35, v186                              // 000000009FA8: 0B757423
	v_mov_b32_e32 v187, v186                                   // 000000009FAC: 7F7603BA
	v_pk_mul_f32 v[116:117], v[116:117], v[186:187]            // 000000009FB0: D3B14074 18037574
	v_pk_mul_f32 v[118:119], v[118:119], v[186:187]            // 000000009FB8: D3B14076 18037576
	v_pk_mul_f32 v[120:121], v[120:121], v[186:187]            // 000000009FC0: D3B14078 18037578
	v_pk_mul_f32 v[122:123], v[122:123], v[186:187]            // 000000009FC8: D3B1407A 1803757A
	v_pk_mul_f32 v[124:125], v[124:125], v[186:187]            // 000000009FD0: D3B1407C 1803757C
	v_pk_mul_f32 v[126:127], v[126:127], v[186:187]            // 000000009FD8: D3B1407E 1803757E
	v_pk_mul_f32 v[128:129], v[128:129], v[186:187]            // 000000009FE0: D3B14080 18037580
	v_pk_mul_f32 v[130:131], v[130:131], v[186:187]            // 000000009FE8: D3B14082 18037582
	v_pk_mul_f32 v[132:133], v[132:133], v[186:187]            // 000000009FF0: D3B14084 18037584
	v_pk_mul_f32 v[134:135], v[134:135], v[186:187]            // 000000009FF8: D3B14086 18037586
	v_pk_mul_f32 v[136:137], v[136:137], v[186:187]            // 00000000A000: D3B14088 18037588
	v_pk_mul_f32 v[138:139], v[138:139], v[186:187]            // 00000000A008: D3B1408A 1803758A
	v_pk_mul_f32 v[140:141], v[140:141], v[186:187]            // 00000000A010: D3B1408C 1803758C
	v_pk_mul_f32 v[142:143], v[142:143], v[186:187]            // 00000000A018: D3B1408E 1803758E
	v_pk_mul_f32 v[144:145], v[144:145], v[186:187]            // 00000000A020: D3B14090 18037590
	v_pk_mul_f32 v[146:147], v[146:147], v[186:187]            // 00000000A028: D3B14092 18037592
	v_pk_mul_f32 v[148:149], v[148:149], v[186:187]            // 00000000A030: D3B14094 18037594
	v_pk_mul_f32 v[150:151], v[150:151], v[186:187]            // 00000000A038: D3B14096 18037596
	v_pk_mul_f32 v[152:153], v[152:153], v[186:187]            // 00000000A040: D3B14098 18037598
	v_pk_mul_f32 v[154:155], v[154:155], v[186:187]            // 00000000A048: D3B1409A 1803759A
	v_pk_mul_f32 v[156:157], v[156:157], v[186:187]            // 00000000A050: D3B1409C 1803759C
	v_pk_mul_f32 v[158:159], v[158:159], v[186:187]            // 00000000A058: D3B1409E 1803759E
	v_pk_mul_f32 v[160:161], v[160:161], v[186:187]            // 00000000A060: D3B140A0 180375A0
	v_pk_mul_f32 v[162:163], v[162:163], v[186:187]            // 00000000A068: D3B140A2 180375A2
	v_pk_mul_f32 v[164:165], v[164:165], v[186:187]            // 00000000A070: D3B140A4 180375A4
	v_pk_mul_f32 v[166:167], v[166:167], v[186:187]            // 00000000A078: D3B140A6 180375A6
	v_pk_mul_f32 v[168:169], v[168:169], v[186:187]            // 00000000A080: D3B140A8 180375A8
	v_pk_mul_f32 v[170:171], v[170:171], v[186:187]            // 00000000A088: D3B140AA 180375AA
	v_pk_mul_f32 v[172:173], v[172:173], v[186:187]            // 00000000A090: D3B140AC 180375AC
	v_pk_mul_f32 v[174:175], v[174:175], v[186:187]            // 00000000A098: D3B140AE 180375AE
	v_pk_mul_f32 v[176:177], v[176:177], v[186:187]            // 00000000A0A0: D3B140B0 180375B0
	v_pk_mul_f32 v[178:179], v[178:179], v[186:187]            // 00000000A0A8: D3B140B2 180375B2
	v_cvt_pk_bf16_f32 v116, v116, v117                         // 00000000A0B0: D2680074 0002EB74
	v_cvt_pk_bf16_f32 v117, v118, v119                         // 00000000A0B8: D2680075 0002EF76
	v_cvt_pk_bf16_f32 v118, v120, v121                         // 00000000A0C0: D2680076 0002F378
	v_cvt_pk_bf16_f32 v119, v122, v123                         // 00000000A0C8: D2680077 0002F77A
	v_cvt_pk_bf16_f32 v120, v124, v125                         // 00000000A0D0: D2680078 0002FB7C
	v_cvt_pk_bf16_f32 v121, v126, v127                         // 00000000A0D8: D2680079 0002FF7E
	v_cvt_pk_bf16_f32 v122, v128, v129                         // 00000000A0E0: D268007A 00030380
	v_cvt_pk_bf16_f32 v123, v130, v131                         // 00000000A0E8: D268007B 00030782
	v_permlane32_swap_b32_e32 v116, v118                       // 00000000A0F0: 7EE8B576
	v_permlane32_swap_b32_e32 v117, v119                       // 00000000A0F4: 7EEAB577
	v_permlane32_swap_b32_e32 v120, v122                       // 00000000A0F8: 7EF0B57A
	v_permlane32_swap_b32_e32 v121, v123                       // 00000000A0FC: 7EF2B57B
	v_add_u32_e32 v184, 0, v221                                // 00000000A100: 6971BA80
	buffer_store_dwordx4 v[116:119], v184, s[4:7], 0 offen     // 00000000A104: E07C1000 800174B8
	v_add_u32_e32 v184, 32, v221                               // 00000000A10C: 6971BAA0
	buffer_store_dwordx4 v[120:123], v184, s[4:7], 0 offen     // 00000000A110: E07C1000 800178B8
	v_cvt_pk_bf16_f32 v124, v132, v133                         // 00000000A118: D268007C 00030B84
	v_cvt_pk_bf16_f32 v125, v134, v135                         // 00000000A120: D268007D 00030F86
	v_cvt_pk_bf16_f32 v126, v136, v137                         // 00000000A128: D268007E 00031388
	v_cvt_pk_bf16_f32 v127, v138, v139                         // 00000000A130: D268007F 0003178A
	v_cvt_pk_bf16_f32 v128, v140, v141                         // 00000000A138: D2680080 00031B8C
	v_cvt_pk_bf16_f32 v129, v142, v143                         // 00000000A140: D2680081 00031F8E
	v_cvt_pk_bf16_f32 v130, v144, v145                         // 00000000A148: D2680082 00032390
	v_cvt_pk_bf16_f32 v131, v146, v147                         // 00000000A150: D2680083 00032792
	v_permlane32_swap_b32_e32 v124, v126                       // 00000000A158: 7EF8B57E
	v_permlane32_swap_b32_e32 v125, v127                       // 00000000A15C: 7EFAB57F
	v_permlane32_swap_b32_e32 v128, v130                       // 00000000A160: 7F00B582
	v_permlane32_swap_b32_e32 v129, v131                       // 00000000A164: 7F02B583
	v_add_u32_e32 v184, 64, v221                               // 00000000A168: 6971BAC0
	buffer_store_dwordx4 v[124:127], v184, s[4:7], 0 offen     // 00000000A16C: E07C1000 80017CB8
	v_add_u32_e32 v184, 0x60, v221                             // 00000000A174: 6971BAFF 00000060
	buffer_store_dwordx4 v[128:131], v184, s[4:7], 0 offen     // 00000000A17C: E07C1000 800180B8
	v_cvt_pk_bf16_f32 v132, v148, v149                         // 00000000A184: D2680084 00032B94
	v_cvt_pk_bf16_f32 v133, v150, v151                         // 00000000A18C: D2680085 00032F96
	v_cvt_pk_bf16_f32 v134, v152, v153                         // 00000000A194: D2680086 00033398
	v_cvt_pk_bf16_f32 v135, v154, v155                         // 00000000A19C: D2680087 0003379A
	v_cvt_pk_bf16_f32 v136, v156, v157                         // 00000000A1A4: D2680088 00033B9C
	v_cvt_pk_bf16_f32 v137, v158, v159                         // 00000000A1AC: D2680089 00033F9E
	v_cvt_pk_bf16_f32 v138, v160, v161                         // 00000000A1B4: D268008A 000343A0
	v_cvt_pk_bf16_f32 v139, v162, v163                         // 00000000A1BC: D268008B 000347A2
	v_permlane32_swap_b32_e32 v132, v134                       // 00000000A1C4: 7F08B586
	v_permlane32_swap_b32_e32 v133, v135                       // 00000000A1C8: 7F0AB587
	v_permlane32_swap_b32_e32 v136, v138                       // 00000000A1CC: 7F10B58A
	v_permlane32_swap_b32_e32 v137, v139                       // 00000000A1D0: 7F12B58B
	v_add_u32_e32 v184, 0x80, v221                             // 00000000A1D4: 6971BAFF 00000080
	buffer_store_dwordx4 v[132:135], v184, s[4:7], 0 offen     // 00000000A1DC: E07C1000 800184B8
	v_add_u32_e32 v184, 0xa0, v221                             // 00000000A1E4: 6971BAFF 000000A0
	buffer_store_dwordx4 v[136:139], v184, s[4:7], 0 offen     // 00000000A1EC: E07C1000 800188B8
	v_cvt_pk_bf16_f32 v140, v164, v165                         // 00000000A1F4: D268008C 00034BA4
	v_cvt_pk_bf16_f32 v141, v166, v167                         // 00000000A1FC: D268008D 00034FA6
	v_cvt_pk_bf16_f32 v142, v168, v169                         // 00000000A204: D268008E 000353A8
	v_cvt_pk_bf16_f32 v143, v170, v171                         // 00000000A20C: D268008F 000357AA
	v_cvt_pk_bf16_f32 v144, v172, v173                         // 00000000A214: D2680090 00035BAC
	v_cvt_pk_bf16_f32 v145, v174, v175                         // 00000000A21C: D2680091 00035FAE
	v_cvt_pk_bf16_f32 v146, v176, v177                         // 00000000A224: D2680092 000363B0
	v_cvt_pk_bf16_f32 v147, v178, v179                         // 00000000A22C: D2680093 000367B2
	v_permlane32_swap_b32_e32 v140, v142                       // 00000000A234: 7F18B58E
	v_permlane32_swap_b32_e32 v141, v143                       // 00000000A238: 7F1AB58F
	v_permlane32_swap_b32_e32 v144, v146                       // 00000000A23C: 7F20B592
	v_permlane32_swap_b32_e32 v145, v147                       // 00000000A240: 7F22B593
	v_add_u32_e32 v184, 0xc0, v221                             // 00000000A244: 6971BAFF 000000C0
	buffer_store_dwordx4 v[140:143], v184, s[4:7], 0 offen     // 00000000A24C: E07C1000 80018CB8
	v_add_u32_e32 v184, 0xe0, v221                             // 00000000A254: 6971BAFF 000000E0
	buffer_store_dwordx4 v[144:147], v184, s[4:7], 0 offen     // 00000000A25C: E07C1000 800190B8
	s_waitcnt vmcnt(0) expcnt(0) lgkmcnt(0)                    // 00000000A264: BF8C0000
	s_endpgm                                                   // 00000000A268: BF810000
